;; amdgpu-corpus repo=ROCm/rocFFT kind=compiled arch=gfx1201 opt=O3
	.text
	.amdgcn_target "amdgcn-amd-amdhsa--gfx1201"
	.amdhsa_code_object_version 6
	.protected	bluestein_single_back_len833_dim1_dp_op_CI_CI ; -- Begin function bluestein_single_back_len833_dim1_dp_op_CI_CI
	.globl	bluestein_single_back_len833_dim1_dp_op_CI_CI
	.p2align	8
	.type	bluestein_single_back_len833_dim1_dp_op_CI_CI,@function
bluestein_single_back_len833_dim1_dp_op_CI_CI: ; @bluestein_single_back_len833_dim1_dp_op_CI_CI
; %bb.0:
	s_load_b128 s[8:11], s[0:1], 0x28
	v_mul_u32_u24_e32 v1, 0x227, v0
	s_mov_b32 s2, exec_lo
	v_mov_b32_e32 v4, 0
	s_delay_alu instid0(VALU_DEP_2) | instskip(NEXT) | instid1(VALU_DEP_1)
	v_lshrrev_b32_e32 v1, 16, v1
	v_add_nc_u32_e32 v3, ttmp9, v1
	s_delay_alu instid0(VALU_DEP_1)
	v_mov_b32_e32 v2, v3
	scratch_store_b64 off, v[2:3], off      ; 8-byte Folded Spill
	s_wait_kmcnt 0x0
	v_cmpx_gt_u64_e64 s[8:9], v[3:4]
	s_cbranch_execz .LBB0_15
; %bb.1:
	s_clause 0x1
	s_load_b64 s[8:9], s[0:1], 0x0
	s_load_b64 s[12:13], s[0:1], 0x38
	v_mul_lo_u16 v1, 0x77, v1
	s_delay_alu instid0(VALU_DEP_1) | instskip(NEXT) | instid1(VALU_DEP_1)
	v_sub_nc_u16 v0, v0, v1
	v_and_b32_e32 v136, 0xffff, v0
	v_cmp_gt_u16_e32 vcc_lo, 49, v0
	s_delay_alu instid0(VALU_DEP_2)
	v_lshlrev_b32_e32 v255, 4, v136
	s_and_saveexec_b32 s3, vcc_lo
	s_cbranch_execz .LBB0_3
; %bb.2:
	scratch_load_b64 v[0:1], off, off       ; 8-byte Folded Reload
	s_load_b64 s[4:5], s[0:1], 0x18
	s_wait_kmcnt 0x0
	s_load_b128 s[4:7], s[4:5], 0x0
	s_wait_kmcnt 0x0
	v_mad_co_u64_u32 v[32:33], null, s4, v136, 0
	s_wait_loadcnt 0x0
	s_delay_alu instid0(VALU_DEP_1) | instskip(NEXT) | instid1(VALU_DEP_1)
	v_dual_mov_b32 v1, v33 :: v_dual_mov_b32 v2, v0
	v_mad_co_u64_u32 v[16:17], null, s6, v2, 0
	s_delay_alu instid0(VALU_DEP_1) | instskip(NEXT) | instid1(VALU_DEP_1)
	v_mov_b32_e32 v0, v17
	v_mad_co_u64_u32 v[2:3], null, s7, v2, v[0:1]
	s_delay_alu instid0(VALU_DEP_1)
	v_mov_b32_e32 v17, v2
	v_mad_co_u64_u32 v[18:19], null, s5, v136, v[1:2]
	s_mul_u64 s[4:5], s[4:5], 0x310
	s_clause 0x3
	global_load_b128 v[0:3], v255, s[8:9]
	global_load_b128 v[4:7], v255, s[8:9] offset:784
	global_load_b128 v[8:11], v255, s[8:9] offset:1568
	;; [unrolled: 1-line block ×3, first 2 shown]
	v_lshlrev_b64_e32 v[34:35], 4, v[16:17]
	v_mov_b32_e32 v33, v18
	s_clause 0x3
	global_load_b128 v[16:19], v255, s[8:9] offset:3136
	global_load_b128 v[20:23], v255, s[8:9] offset:3920
	;; [unrolled: 1-line block ×4, first 2 shown]
	v_add_co_u32 v42, s2, s10, v34
	s_delay_alu instid0(VALU_DEP_1)
	v_add_co_ci_u32_e64 v43, s2, s11, v35, s2
	v_lshlrev_b64_e32 v[40:41], 4, v[32:33]
	s_clause 0x1
	global_load_b128 v[32:35], v255, s[8:9] offset:6272
	global_load_b128 v[36:39], v255, s[8:9] offset:7056
	v_add_co_u32 v56, s2, v42, v40
	s_wait_alu 0xf1ff
	v_add_co_ci_u32_e64 v57, s2, v43, v41, s2
	s_clause 0x1
	global_load_b128 v[40:43], v255, s[8:9] offset:7840
	global_load_b128 v[44:47], v255, s[8:9] offset:8624
	s_wait_alu 0xfffe
	v_add_co_u32 v60, s2, v56, s4
	s_wait_alu 0xf1ff
	v_add_co_ci_u32_e64 v61, s2, s5, v57, s2
	s_clause 0x1
	global_load_b128 v[48:51], v255, s[8:9] offset:9408
	global_load_b128 v[52:55], v255, s[8:9] offset:10192
	v_add_co_u32 v64, s2, v60, s4
	s_wait_alu 0xf1ff
	v_add_co_ci_u32_e64 v65, s2, s5, v61, s2
	s_clause 0x1
	global_load_b128 v[56:59], v[56:57], off
	global_load_b128 v[60:63], v[60:61], off
	v_add_co_u32 v68, s2, v64, s4
	s_wait_alu 0xf1ff
	v_add_co_ci_u32_e64 v69, s2, s5, v65, s2
	s_delay_alu instid0(VALU_DEP_2) | instskip(SKIP_1) | instid1(VALU_DEP_2)
	v_add_co_u32 v72, s2, v68, s4
	s_wait_alu 0xf1ff
	v_add_co_ci_u32_e64 v73, s2, s5, v69, s2
	s_clause 0x1
	global_load_b128 v[64:67], v[64:65], off
	global_load_b128 v[68:71], v[68:69], off
	v_add_co_u32 v76, s2, v72, s4
	s_wait_alu 0xf1ff
	v_add_co_ci_u32_e64 v77, s2, s5, v73, s2
	global_load_b128 v[72:75], v[72:73], off
	v_add_co_u32 v80, s2, v76, s4
	s_wait_alu 0xf1ff
	v_add_co_ci_u32_e64 v81, s2, s5, v77, s2
	;; [unrolled: 4-line block ×12, first 2 shown]
	s_clause 0x1
	global_load_b128 v[116:119], v255, s[8:9] offset:10976
	global_load_b128 v[120:123], v255, s[8:9] offset:11760
	global_load_b128 v[124:127], v[124:125], off
	global_load_b128 v[128:131], v255, s[8:9] offset:12544
	global_load_b128 v[132:135], v[132:133], off
	s_wait_loadcnt 0x13
	v_mul_f64_e32 v[137:138], v[58:59], v[2:3]
	v_mul_f64_e32 v[2:3], v[56:57], v[2:3]
	s_wait_loadcnt 0x12
	v_mul_f64_e32 v[139:140], v[62:63], v[6:7]
	v_mul_f64_e32 v[6:7], v[60:61], v[6:7]
	s_wait_loadcnt 0x11
	v_mul_f64_e32 v[141:142], v[66:67], v[10:11]
	v_mul_f64_e32 v[10:11], v[64:65], v[10:11]
	s_wait_loadcnt 0x10
	v_mul_f64_e32 v[143:144], v[70:71], v[14:15]
	v_mul_f64_e32 v[14:15], v[68:69], v[14:15]
	s_wait_loadcnt 0xf
	v_mul_f64_e32 v[145:146], v[74:75], v[18:19]
	v_mul_f64_e32 v[18:19], v[72:73], v[18:19]
	s_wait_loadcnt 0xe
	v_mul_f64_e32 v[147:148], v[78:79], v[22:23]
	v_mul_f64_e32 v[22:23], v[76:77], v[22:23]
	s_wait_loadcnt 0xd
	v_mul_f64_e32 v[149:150], v[82:83], v[26:27]
	v_mul_f64_e32 v[26:27], v[80:81], v[26:27]
	s_wait_loadcnt 0xc
	v_mul_f64_e32 v[151:152], v[86:87], v[30:31]
	v_mul_f64_e32 v[30:31], v[84:85], v[30:31]
	s_wait_loadcnt 0xb
	v_mul_f64_e32 v[153:154], v[90:91], v[34:35]
	v_mul_f64_e32 v[34:35], v[88:89], v[34:35]
	s_wait_loadcnt 0xa
	v_mul_f64_e32 v[155:156], v[94:95], v[38:39]
	v_mul_f64_e32 v[38:39], v[92:93], v[38:39]
	s_wait_loadcnt 0x9
	v_mul_f64_e32 v[157:158], v[98:99], v[42:43]
	v_mul_f64_e32 v[42:43], v[96:97], v[42:43]
	s_wait_loadcnt 0x8
	v_mul_f64_e32 v[159:160], v[102:103], v[46:47]
	v_mul_f64_e32 v[46:47], v[100:101], v[46:47]
	s_wait_loadcnt 0x7
	v_mul_f64_e32 v[161:162], v[106:107], v[50:51]
	v_mul_f64_e32 v[50:51], v[104:105], v[50:51]
	s_wait_loadcnt 0x6
	v_mul_f64_e32 v[163:164], v[110:111], v[54:55]
	v_mul_f64_e32 v[165:166], v[108:109], v[54:55]
	v_fma_f64 v[54:55], v[56:57], v[0:1], v[137:138]
	v_fma_f64 v[56:57], v[58:59], v[0:1], -v[2:3]
	v_fma_f64 v[0:1], v[60:61], v[4:5], v[139:140]
	v_fma_f64 v[2:3], v[62:63], v[4:5], -v[6:7]
	s_wait_loadcnt 0x4
	v_mul_f64_e32 v[167:168], v[114:115], v[118:119]
	v_mul_f64_e32 v[118:119], v[112:113], v[118:119]
	s_wait_loadcnt 0x2
	v_mul_f64_e32 v[169:170], v[126:127], v[122:123]
	v_mul_f64_e32 v[122:123], v[124:125], v[122:123]
	s_wait_loadcnt 0x0
	v_mul_f64_e32 v[171:172], v[134:135], v[130:131]
	v_mul_f64_e32 v[130:131], v[132:133], v[130:131]
	v_fma_f64 v[4:5], v[64:65], v[8:9], v[141:142]
	v_fma_f64 v[6:7], v[66:67], v[8:9], -v[10:11]
	v_fma_f64 v[8:9], v[68:69], v[12:13], v[143:144]
	v_fma_f64 v[10:11], v[70:71], v[12:13], -v[14:15]
	;; [unrolled: 2-line block ×15, first 2 shown]
	ds_store_b128 v255, v[54:57]
	ds_store_b128 v255, v[0:3] offset:784
	ds_store_b128 v255, v[4:7] offset:1568
	;; [unrolled: 1-line block ×16, first 2 shown]
.LBB0_3:
	s_or_b32 exec_lo, exec_lo, s3
	s_clause 0x1
	s_load_b64 s[2:3], s[0:1], 0x20
	s_load_b64 s[4:5], s[0:1], 0x8
	global_wb scope:SCOPE_SE
	s_wait_storecnt_dscnt 0x0
	s_wait_kmcnt 0x0
	s_barrier_signal -1
	s_barrier_wait -1
	global_inv scope:SCOPE_SE
                                        ; implicit-def: $vgpr36_vgpr37
                                        ; implicit-def: $vgpr68_vgpr69
                                        ; implicit-def: $vgpr72_vgpr73
                                        ; implicit-def: $vgpr76_vgpr77
                                        ; implicit-def: $vgpr80_vgpr81
                                        ; implicit-def: $vgpr84_vgpr85
                                        ; implicit-def: $vgpr88_vgpr89
                                        ; implicit-def: $vgpr96_vgpr97
                                        ; implicit-def: $vgpr100_vgpr101
                                        ; implicit-def: $vgpr104_vgpr105
                                        ; implicit-def: $vgpr92_vgpr93
                                        ; implicit-def: $vgpr64_vgpr65
                                        ; implicit-def: $vgpr56_vgpr57
                                        ; implicit-def: $vgpr52_vgpr53
                                        ; implicit-def: $vgpr48_vgpr49
                                        ; implicit-def: $vgpr44_vgpr45
                                        ; implicit-def: $vgpr40_vgpr41
	s_and_saveexec_b32 s0, vcc_lo
	s_cbranch_execz .LBB0_5
; %bb.4:
	ds_load_b128 v[36:39], v255
	ds_load_b128 v[68:71], v255 offset:784
	ds_load_b128 v[72:75], v255 offset:1568
	;; [unrolled: 1-line block ×16, first 2 shown]
.LBB0_5:
	s_wait_alu 0xfffe
	s_or_b32 exec_lo, exec_lo, s0
	s_wait_dscnt 0x0
	v_add_f64_e64 v[2:3], v[70:71], -v[42:43]
	s_mov_b32 s38, 0x5d8e7cdc
	s_mov_b32 s39, 0xbfd71e95
	v_add_f64_e32 v[112:113], v[68:69], v[40:41]
	v_add_f64_e64 v[0:1], v[68:69], -v[40:41]
	v_add_f64_e64 v[118:119], v[74:75], -v[46:47]
	s_mov_b32 s0, 0x370991
	s_mov_b32 s46, 0x2a9d6da3
	;; [unrolled: 1-line block ×4, first 2 shown]
	v_add_f64_e32 v[114:115], v[70:71], v[42:43]
	v_add_f64_e32 v[108:109], v[72:73], v[44:45]
	v_add_f64_e64 v[116:117], v[72:73], -v[44:45]
	s_mov_b32 s6, 0x75d4884
	s_mov_b32 s7, 0x3fe7a5f6
	v_add_f64_e32 v[110:111], v[74:75], v[46:47]
	s_mov_b32 s42, 0xeb564b22
	s_mov_b32 s43, 0xbfefdd0d
	;; [unrolled: 1-line block ×22, first 2 shown]
	v_mul_f64_e32 v[4:5], s[38:39], v[2:3]
	v_mul_f64_e32 v[8:9], s[46:47], v[2:3]
	;; [unrolled: 1-line block ×10, first 2 shown]
	s_mov_b32 s51, 0x3fe0d888
	s_mov_b32 s50, s30
	v_mul_f64_e32 v[122:123], s[46:47], v[116:117]
	v_mul_f64_e32 v[22:23], s[24:25], v[0:1]
	s_mov_b32 s20, 0x910ea3b9
	s_mov_b32 s21, 0xbfeb34fa
	v_mul_f64_e32 v[24:25], s[26:27], v[2:3]
	s_mov_b32 s49, 0x3feec746
	s_mov_b32 s48, s24
	v_mul_f64_e32 v[26:27], s[26:27], v[0:1]
	v_mul_f64_e32 v[28:29], s[30:31], v[2:3]
	s_mov_b32 s29, 0x3feca52d
	s_mov_b32 s28, s36
	v_mul_f64_e32 v[32:33], s[30:31], v[0:1]
	;; [unrolled: 4-line block ×3, first 2 shown]
	v_add_f64_e32 v[145:146], v[76:77], v[48:49]
	v_add_f64_e32 v[149:150], v[78:79], v[50:51]
	s_mov_b32 s41, 0x3fc7851a
	s_mov_b32 s40, s34
	v_add_f64_e32 v[173:174], v[80:81], v[52:53]
	v_add_f64_e32 v[177:178], v[82:83], v[54:55]
	s_mov_b32 s53, 0x3fe9895b
	s_mov_b32 s52, s26
	v_add_f64_e32 v[201:202], v[84:85], v[56:57]
	v_add_f64_e32 v[203:204], v[86:87], v[58:59]
	scratch_store_b64 off, v[4:5], off offset:8 ; 8-byte Folded Spill
	s_wait_alu 0xfffe
	v_fma_f64 v[4:5], v[112:113], s[0:1], v[4:5]
	scratch_store_b64 off, v[8:9], off offset:32 ; 8-byte Folded Spill
	v_fma_f64 v[8:9], v[112:113], s[6:7], v[8:9]
	scratch_store_b64 off, v[6:7], off offset:16 ; 8-byte Folded Spill
	v_fma_f64 v[6:7], v[114:115], s[0:1], -v[6:7]
	scratch_store_b64 off, v[120:121], off offset:136 ; 8-byte Folded Spill
	v_fma_f64 v[120:121], v[108:109], s[6:7], v[120:121]
	scratch_store_b64 off, v[10:11], off offset:48 ; 8-byte Folded Spill
	v_fma_f64 v[10:11], v[114:115], s[6:7], -v[10:11]
	s_clause 0x3
	scratch_store_b64 off, v[12:13], off offset:64
	scratch_store_b64 off, v[14:15], off offset:72
	;; [unrolled: 1-line block ×4, first 2 shown]
	v_fma_f64 v[12:13], v[112:113], s[10:11], v[12:13]
	v_fma_f64 v[14:15], v[114:115], s[10:11], -v[14:15]
	v_fma_f64 v[16:17], v[112:113], s[14:15], v[16:17]
	v_fma_f64 v[18:19], v[114:115], s[14:15], -v[18:19]
	s_clause 0x3
	scratch_store_b64 off, v[20:21], off offset:96
	scratch_store_b64 off, v[22:23], off offset:112
	scratch_store_b64 off, v[24:25], off offset:120
	scratch_store_b64 off, v[26:27], off offset:128
	v_fma_f64 v[20:21], v[112:113], s[16:17], v[20:21]
	v_fma_f64 v[22:23], v[114:115], s[16:17], -v[22:23]
	v_fma_f64 v[24:25], v[112:113], s[18:19], v[24:25]
	v_fma_f64 v[26:27], v[114:115], s[18:19], -v[26:27]
	v_fma_f64 v[30:31], v[112:113], s[20:21], -v[28:29]
	v_fma_f64 v[28:29], v[112:113], s[20:21], v[28:29]
	v_fma_f64 v[34:35], v[114:115], s[20:21], v[32:33]
	v_fma_f64 v[32:33], v[114:115], s[20:21], -v[32:33]
	v_fma_f64 v[60:61], v[112:113], s[22:23], -v[2:3]
	v_fma_f64 v[2:3], v[112:113], s[22:23], v[2:3]
	v_fma_f64 v[62:63], v[114:115], s[22:23], v[0:1]
	v_fma_f64 v[0:1], v[114:115], s[22:23], -v[0:1]
	v_add_f64_e32 v[229:230], v[88:89], v[64:65]
	v_add_f64_e32 v[231:232], v[90:91], v[66:67]
	v_add_f64_e64 v[153:154], v[98:99], -v[94:95]
	v_add_f64_e64 v[209:210], v[102:103], -v[106:107]
	;; [unrolled: 1-line block ×3, first 2 shown]
	v_add_f64_e32 v[4:5], v[36:37], v[4:5]
	v_add_f64_e32 v[8:9], v[36:37], v[8:9]
	;; [unrolled: 1-line block ×20, first 2 shown]
	v_mul_f64_e32 v[167:168], s[28:29], v[153:154]
	v_mul_f64_e32 v[163:164], s[42:43], v[153:154]
	;; [unrolled: 1-line block ×3, first 2 shown]
	v_add_f64_e32 v[4:5], v[120:121], v[4:5]
	v_fma_f64 v[120:121], v[110:111], s[6:7], -v[122:123]
	v_mul_f64_e32 v[179:180], s[34:35], v[153:154]
	v_mul_f64_e32 v[175:176], s[34:35], v[199:200]
	;; [unrolled: 1-line block ×6, first 2 shown]
	v_add_f64_e32 v[6:7], v[120:121], v[6:7]
	v_mul_f64_e32 v[120:121], s[42:43], v[118:119]
	scratch_store_b64 off, v[122:123], off offset:144 ; 8-byte Folded Spill
	v_mul_f64_e32 v[122:123], s[42:43], v[116:117]
	scratch_store_b64 off, v[120:121], off offset:208 ; 8-byte Folded Spill
	v_fma_f64 v[120:121], v[108:109], s[14:15], v[120:121]
	scratch_store_b64 off, v[122:123], off offset:216 ; 8-byte Folded Spill
	v_add_f64_e32 v[8:9], v[120:121], v[8:9]
	v_fma_f64 v[120:121], v[110:111], s[14:15], -v[122:123]
	v_mul_f64_e32 v[122:123], s[26:27], v[116:117]
	s_delay_alu instid0(VALU_DEP_2)
	v_add_f64_e32 v[10:11], v[120:121], v[10:11]
	v_mul_f64_e32 v[120:121], s[26:27], v[118:119]
	s_clause 0x1
	scratch_store_b64 off, v[122:123], off offset:200
	scratch_store_b64 off, v[120:121], off offset:192
	v_fma_f64 v[120:121], v[108:109], s[18:19], v[120:121]
	s_delay_alu instid0(VALU_DEP_1) | instskip(SKIP_2) | instid1(VALU_DEP_2)
	v_add_f64_e32 v[12:13], v[120:121], v[12:13]
	v_fma_f64 v[120:121], v[110:111], s[18:19], -v[122:123]
	v_mul_f64_e32 v[122:123], s[34:35], v[116:117]
	v_add_f64_e32 v[14:15], v[120:121], v[14:15]
	v_mul_f64_e32 v[120:121], s[34:35], v[118:119]
	s_clause 0x1
	scratch_store_b64 off, v[122:123], off offset:184
	scratch_store_b64 off, v[120:121], off offset:176
	v_fma_f64 v[120:121], v[108:109], s[22:23], v[120:121]
	s_delay_alu instid0(VALU_DEP_1) | instskip(SKIP_2) | instid1(VALU_DEP_2)
	v_add_f64_e32 v[16:17], v[120:121], v[16:17]
	v_fma_f64 v[120:121], v[110:111], s[22:23], -v[122:123]
	v_mul_f64_e32 v[122:123], s[50:51], v[116:117]
	v_add_f64_e32 v[18:19], v[120:121], v[18:19]
	v_mul_f64_e32 v[120:121], s[50:51], v[118:119]
	scratch_store_b64 off, v[120:121], off offset:160 ; 8-byte Folded Spill
	v_fma_f64 v[120:121], v[108:109], s[20:21], v[120:121]
	s_delay_alu instid0(VALU_DEP_1) | instskip(SKIP_1) | instid1(VALU_DEP_1)
	v_add_f64_e32 v[20:21], v[120:121], v[20:21]
	v_fma_f64 v[120:121], v[110:111], s[20:21], -v[122:123]
	v_add_f64_e32 v[22:23], v[120:121], v[22:23]
	v_mul_f64_e32 v[120:121], s[48:49], v[118:119]
	scratch_store_b64 off, v[122:123], off offset:168 ; 8-byte Folded Spill
	v_mul_f64_e32 v[122:123], s[48:49], v[116:117]
	scratch_store_b64 off, v[120:121], off offset:224 ; 8-byte Folded Spill
	v_fma_f64 v[120:121], v[108:109], s[16:17], v[120:121]
	scratch_store_b64 off, v[122:123], off offset:232 ; 8-byte Folded Spill
	v_add_f64_e32 v[24:25], v[120:121], v[24:25]
	v_fma_f64 v[120:121], v[110:111], s[16:17], -v[122:123]
	s_delay_alu instid0(VALU_DEP_1) | instskip(SKIP_2) | instid1(VALU_DEP_2)
	v_add_f64_e32 v[26:27], v[120:121], v[26:27]
	v_mul_f64_e32 v[120:121], s[28:29], v[118:119]
	v_mul_f64_e32 v[118:119], s[44:45], v[118:119]
	v_fma_f64 v[122:123], v[108:109], s[10:11], -v[120:121]
	v_fma_f64 v[120:121], v[108:109], s[10:11], v[120:121]
	s_delay_alu instid0(VALU_DEP_2) | instskip(SKIP_1) | instid1(VALU_DEP_3)
	v_add_f64_e32 v[30:31], v[122:123], v[30:31]
	v_mul_f64_e32 v[122:123], s[28:29], v[116:117]
	v_add_f64_e32 v[28:29], v[120:121], v[28:29]
	v_mul_f64_e32 v[116:117], s[44:45], v[116:117]
	s_delay_alu instid0(VALU_DEP_3) | instskip(SKIP_1) | instid1(VALU_DEP_2)
	v_fma_f64 v[120:121], v[110:111], s[10:11], -v[122:123]
	v_fma_f64 v[124:125], v[110:111], s[10:11], v[122:123]
	v_add_f64_e32 v[32:33], v[120:121], v[32:33]
	v_fma_f64 v[120:121], v[108:109], s[0:1], -v[118:119]
	v_fma_f64 v[118:119], v[108:109], s[0:1], v[118:119]
	s_delay_alu instid0(VALU_DEP_4) | instskip(NEXT) | instid1(VALU_DEP_3)
	v_add_f64_e32 v[34:35], v[124:125], v[34:35]
	v_add_f64_e32 v[60:61], v[120:121], v[60:61]
	v_fma_f64 v[120:121], v[110:111], s[0:1], v[116:117]
	s_delay_alu instid0(VALU_DEP_4) | instskip(SKIP_2) | instid1(VALU_DEP_4)
	v_add_f64_e32 v[2:3], v[118:119], v[2:3]
	v_fma_f64 v[116:117], v[110:111], s[0:1], -v[116:117]
	v_add_f64_e64 v[118:119], v[78:79], -v[50:51]
	v_add_f64_e32 v[62:63], v[120:121], v[62:63]
	s_delay_alu instid0(VALU_DEP_3) | instskip(SKIP_1) | instid1(VALU_DEP_4)
	v_add_f64_e32 v[0:1], v[116:117], v[0:1]
	v_add_f64_e64 v[116:117], v[76:77], -v[48:49]
	v_mul_f64_e32 v[120:121], s[36:37], v[118:119]
	s_delay_alu instid0(VALU_DEP_2) | instskip(SKIP_2) | instid1(VALU_DEP_1)
	v_mul_f64_e32 v[122:123], s[36:37], v[116:117]
	scratch_store_b64 off, v[120:121], off offset:240 ; 8-byte Folded Spill
	v_fma_f64 v[120:121], v[145:146], s[10:11], v[120:121]
	v_add_f64_e32 v[4:5], v[120:121], v[4:5]
	v_fma_f64 v[120:121], v[149:150], s[10:11], -v[122:123]
	s_delay_alu instid0(VALU_DEP_1)
	v_add_f64_e32 v[6:7], v[120:121], v[6:7]
	v_mul_f64_e32 v[120:121], s[26:27], v[118:119]
	scratch_store_b64 off, v[122:123], off offset:248 ; 8-byte Folded Spill
	v_mul_f64_e32 v[122:123], s[26:27], v[116:117]
	scratch_store_b64 off, v[120:121], off offset:304 ; 8-byte Folded Spill
	v_fma_f64 v[120:121], v[145:146], s[18:19], v[120:121]
	scratch_store_b64 off, v[122:123], off offset:312 ; 8-byte Folded Spill
	v_add_f64_e32 v[8:9], v[120:121], v[8:9]
	v_fma_f64 v[120:121], v[149:150], s[18:19], -v[122:123]
	v_mul_f64_e32 v[122:123], s[40:41], v[116:117]
	s_delay_alu instid0(VALU_DEP_2)
	v_add_f64_e32 v[10:11], v[120:121], v[10:11]
	v_mul_f64_e32 v[120:121], s[40:41], v[118:119]
	s_mov_b32 s41, 0x3fe58eea
	s_mov_b32 s40, s46
	scratch_store_b64 off, v[122:123], off offset:296 ; 8-byte Folded Spill
	s_wait_alu 0xfffe
	v_mul_f64_e32 v[171:172], s[40:41], v[153:154]
	v_mul_f64_e32 v[193:194], s[40:41], v[199:200]
	scratch_store_b64 off, v[120:121], off offset:288 ; 8-byte Folded Spill
	v_fma_f64 v[120:121], v[145:146], s[22:23], v[120:121]
	s_delay_alu instid0(VALU_DEP_1) | instskip(SKIP_2) | instid1(VALU_DEP_2)
	v_add_f64_e32 v[12:13], v[120:121], v[12:13]
	v_fma_f64 v[120:121], v[149:150], s[22:23], -v[122:123]
	v_mul_f64_e32 v[122:123], s[48:49], v[116:117]
	v_add_f64_e32 v[14:15], v[120:121], v[14:15]
	v_mul_f64_e32 v[120:121], s[48:49], v[118:119]
	s_clause 0x1
	scratch_store_b64 off, v[122:123], off offset:280
	scratch_store_b64 off, v[120:121], off offset:272
	v_fma_f64 v[120:121], v[145:146], s[16:17], v[120:121]
	s_delay_alu instid0(VALU_DEP_1) | instskip(SKIP_2) | instid1(VALU_DEP_2)
	v_add_f64_e32 v[16:17], v[120:121], v[16:17]
	v_fma_f64 v[120:121], v[149:150], s[16:17], -v[122:123]
	v_mul_f64_e32 v[122:123], s[40:41], v[116:117]
	v_add_f64_e32 v[18:19], v[120:121], v[18:19]
	v_mul_f64_e32 v[120:121], s[40:41], v[118:119]
	scratch_store_b64 off, v[120:121], off offset:256 ; 8-byte Folded Spill
	v_fma_f64 v[120:121], v[145:146], s[6:7], v[120:121]
	s_delay_alu instid0(VALU_DEP_1) | instskip(SKIP_1) | instid1(VALU_DEP_1)
	v_add_f64_e32 v[20:21], v[120:121], v[20:21]
	v_fma_f64 v[120:121], v[149:150], s[6:7], -v[122:123]
	v_add_f64_e32 v[22:23], v[120:121], v[22:23]
	v_mul_f64_e32 v[120:121], s[38:39], v[118:119]
	scratch_store_b64 off, v[122:123], off offset:264 ; 8-byte Folded Spill
	v_mul_f64_e32 v[122:123], s[38:39], v[116:117]
	scratch_store_b64 off, v[120:121], off offset:320 ; 8-byte Folded Spill
	v_fma_f64 v[120:121], v[145:146], s[0:1], v[120:121]
	scratch_store_b64 off, v[122:123], off offset:328 ; 8-byte Folded Spill
	v_add_f64_e32 v[24:25], v[120:121], v[24:25]
	v_fma_f64 v[120:121], v[149:150], s[0:1], -v[122:123]
	s_delay_alu instid0(VALU_DEP_1) | instskip(SKIP_2) | instid1(VALU_DEP_2)
	v_add_f64_e32 v[26:27], v[120:121], v[26:27]
	v_mul_f64_e32 v[120:121], s[42:43], v[118:119]
	v_mul_f64_e32 v[118:119], s[30:31], v[118:119]
	v_fma_f64 v[122:123], v[145:146], s[14:15], -v[120:121]
	v_fma_f64 v[120:121], v[145:146], s[14:15], v[120:121]
	s_delay_alu instid0(VALU_DEP_2) | instskip(SKIP_1) | instid1(VALU_DEP_3)
	v_add_f64_e32 v[30:31], v[122:123], v[30:31]
	v_mul_f64_e32 v[122:123], s[42:43], v[116:117]
	v_add_f64_e32 v[28:29], v[120:121], v[28:29]
	v_mul_f64_e32 v[116:117], s[30:31], v[116:117]
	s_delay_alu instid0(VALU_DEP_3) | instskip(SKIP_1) | instid1(VALU_DEP_2)
	v_fma_f64 v[120:121], v[149:150], s[14:15], -v[122:123]
	v_fma_f64 v[124:125], v[149:150], s[14:15], v[122:123]
	v_add_f64_e32 v[32:33], v[120:121], v[32:33]
	v_fma_f64 v[120:121], v[145:146], s[20:21], -v[118:119]
	v_fma_f64 v[118:119], v[145:146], s[20:21], v[118:119]
	s_delay_alu instid0(VALU_DEP_4) | instskip(NEXT) | instid1(VALU_DEP_3)
	v_add_f64_e32 v[34:35], v[124:125], v[34:35]
	v_add_f64_e32 v[60:61], v[120:121], v[60:61]
	v_fma_f64 v[120:121], v[149:150], s[20:21], v[116:117]
	s_delay_alu instid0(VALU_DEP_4) | instskip(SKIP_2) | instid1(VALU_DEP_4)
	v_add_f64_e32 v[2:3], v[118:119], v[2:3]
	v_fma_f64 v[116:117], v[149:150], s[20:21], -v[116:117]
	v_add_f64_e64 v[118:119], v[82:83], -v[54:55]
	v_add_f64_e32 v[62:63], v[120:121], v[62:63]
	s_delay_alu instid0(VALU_DEP_3) | instskip(SKIP_1) | instid1(VALU_DEP_4)
	v_add_f64_e32 v[0:1], v[116:117], v[0:1]
	v_add_f64_e64 v[116:117], v[80:81], -v[52:53]
	v_mul_f64_e32 v[120:121], s[42:43], v[118:119]
	v_mul_f64_e32 v[217:218], s[34:35], v[118:119]
	;; [unrolled: 1-line block ×3, first 2 shown]
	s_delay_alu instid0(VALU_DEP_4) | instskip(SKIP_4) | instid1(VALU_DEP_3)
	v_mul_f64_e32 v[122:123], s[42:43], v[116:117]
	scratch_store_b64 off, v[120:121], off offset:336 ; 8-byte Folded Spill
	v_fma_f64 v[120:121], v[173:174], s[14:15], v[120:121]
	v_mul_f64_e32 v[219:220], s[34:35], v[116:117]
	v_mul_f64_e32 v[227:228], s[30:31], v[116:117]
	v_add_f64_e32 v[4:5], v[120:121], v[4:5]
	v_fma_f64 v[120:121], v[177:178], s[14:15], -v[122:123]
	s_delay_alu instid0(VALU_DEP_1) | instskip(SKIP_1) | instid1(VALU_DEP_1)
	v_add_f64_e32 v[6:7], v[120:121], v[6:7]
	v_fma_f64 v[120:121], v[173:174], s[22:23], v[217:218]
	v_add_f64_e32 v[8:9], v[120:121], v[8:9]
	v_fma_f64 v[120:121], v[177:178], s[22:23], -v[219:220]
	s_delay_alu instid0(VALU_DEP_1)
	v_add_f64_e32 v[10:11], v[120:121], v[10:11]
	v_mul_f64_e32 v[120:121], s[48:49], v[118:119]
	scratch_store_b64 off, v[122:123], off offset:344 ; 8-byte Folded Spill
	v_mul_f64_e32 v[122:123], s[48:49], v[116:117]
	scratch_store_b64 off, v[120:121], off offset:384 ; 8-byte Folded Spill
	v_fma_f64 v[120:121], v[173:174], s[16:17], v[120:121]
	scratch_store_b64 off, v[122:123], off offset:392 ; 8-byte Folded Spill
	v_add_f64_e32 v[12:13], v[120:121], v[12:13]
	v_fma_f64 v[120:121], v[177:178], s[16:17], -v[122:123]
	v_mul_f64_e32 v[122:123], s[44:45], v[116:117]
	s_delay_alu instid0(VALU_DEP_2)
	v_add_f64_e32 v[14:15], v[120:121], v[14:15]
	v_mul_f64_e32 v[120:121], s[44:45], v[118:119]
	s_clause 0x1
	scratch_store_b64 off, v[122:123], off offset:376
	scratch_store_b64 off, v[120:121], off offset:368
	v_fma_f64 v[120:121], v[173:174], s[0:1], v[120:121]
	s_delay_alu instid0(VALU_DEP_1) | instskip(SKIP_2) | instid1(VALU_DEP_2)
	v_add_f64_e32 v[16:17], v[120:121], v[16:17]
	v_fma_f64 v[120:121], v[177:178], s[0:1], -v[122:123]
	v_mul_f64_e32 v[122:123], s[36:37], v[116:117]
	v_add_f64_e32 v[18:19], v[120:121], v[18:19]
	v_mul_f64_e32 v[120:121], s[36:37], v[118:119]
	s_clause 0x1
	scratch_store_b64 off, v[122:123], off offset:360
	scratch_store_b64 off, v[120:121], off offset:352
	v_fma_f64 v[120:121], v[173:174], s[10:11], v[120:121]
	global_wb scope:SCOPE_SE
	s_wait_storecnt 0x0
	s_barrier_signal -1
	s_barrier_wait -1
	global_inv scope:SCOPE_SE
	v_add_f64_e32 v[20:21], v[120:121], v[20:21]
	v_fma_f64 v[120:121], v[177:178], s[10:11], -v[122:123]
	s_delay_alu instid0(VALU_DEP_1) | instskip(SKIP_1) | instid1(VALU_DEP_1)
	v_add_f64_e32 v[22:23], v[120:121], v[22:23]
	v_fma_f64 v[120:121], v[173:174], s[20:21], v[221:222]
	v_add_f64_e32 v[24:25], v[120:121], v[24:25]
	v_fma_f64 v[120:121], v[177:178], s[20:21], -v[227:228]
	s_delay_alu instid0(VALU_DEP_1) | instskip(SKIP_2) | instid1(VALU_DEP_2)
	v_add_f64_e32 v[26:27], v[120:121], v[26:27]
	v_mul_f64_e32 v[120:121], s[52:53], v[118:119]
	v_mul_f64_e32 v[118:119], s[40:41], v[118:119]
	v_fma_f64 v[122:123], v[173:174], s[18:19], -v[120:121]
	v_fma_f64 v[120:121], v[173:174], s[18:19], v[120:121]
	s_delay_alu instid0(VALU_DEP_2) | instskip(SKIP_1) | instid1(VALU_DEP_3)
	v_add_f64_e32 v[30:31], v[122:123], v[30:31]
	v_mul_f64_e32 v[122:123], s[52:53], v[116:117]
	v_add_f64_e32 v[28:29], v[120:121], v[28:29]
	v_mul_f64_e32 v[116:117], s[40:41], v[116:117]
	s_delay_alu instid0(VALU_DEP_3) | instskip(SKIP_1) | instid1(VALU_DEP_2)
	v_fma_f64 v[120:121], v[177:178], s[18:19], -v[122:123]
	v_fma_f64 v[124:125], v[177:178], s[18:19], v[122:123]
	v_add_f64_e32 v[32:33], v[120:121], v[32:33]
	v_fma_f64 v[120:121], v[173:174], s[6:7], -v[118:119]
	v_fma_f64 v[118:119], v[173:174], s[6:7], v[118:119]
	s_delay_alu instid0(VALU_DEP_4) | instskip(NEXT) | instid1(VALU_DEP_3)
	v_add_f64_e32 v[34:35], v[124:125], v[34:35]
	v_add_f64_e32 v[60:61], v[120:121], v[60:61]
	v_fma_f64 v[120:121], v[177:178], s[6:7], v[116:117]
	s_delay_alu instid0(VALU_DEP_4) | instskip(SKIP_2) | instid1(VALU_DEP_4)
	v_add_f64_e32 v[2:3], v[118:119], v[2:3]
	v_fma_f64 v[116:117], v[177:178], s[6:7], -v[116:117]
	v_add_f64_e64 v[118:119], v[86:87], -v[58:59]
	v_add_f64_e32 v[62:63], v[120:121], v[62:63]
	s_delay_alu instid0(VALU_DEP_3) | instskip(SKIP_1) | instid1(VALU_DEP_4)
	v_add_f64_e32 v[0:1], v[116:117], v[0:1]
	v_add_f64_e64 v[116:117], v[84:85], -v[56:57]
	v_mul_f64_e32 v[223:224], s[24:25], v[118:119]
	v_mul_f64_e32 v[245:246], s[50:51], v[118:119]
	;; [unrolled: 1-line block ×6, first 2 shown]
	v_fma_f64 v[120:121], v[201:202], s[16:17], v[223:224]
	v_mul_f64_e32 v[247:248], s[50:51], v[116:117]
	v_mul_f64_e32 v[243:244], s[40:41], v[116:117]
	;; [unrolled: 1-line block ×4, first 2 shown]
	s_mov_b32 s37, 0x3fefdd0d
	s_mov_b32 s36, s42
	s_wait_alu 0xfffe
	v_mul_f64_e32 v[249:250], s[36:37], v[118:119]
	v_mul_f64_e32 v[253:254], s[36:37], v[116:117]
	v_add_f64_e32 v[4:5], v[120:121], v[4:5]
	v_fma_f64 v[120:121], v[203:204], s[16:17], -v[225:226]
	s_delay_alu instid0(VALU_DEP_1) | instskip(SKIP_1) | instid1(VALU_DEP_1)
	v_add_f64_e32 v[6:7], v[120:121], v[6:7]
	v_fma_f64 v[120:121], v[201:202], s[20:21], v[245:246]
	v_add_f64_e32 v[8:9], v[120:121], v[8:9]
	v_fma_f64 v[120:121], v[203:204], s[20:21], -v[247:248]
	s_delay_alu instid0(VALU_DEP_1) | instskip(SKIP_1) | instid1(VALU_DEP_1)
	v_add_f64_e32 v[10:11], v[120:121], v[10:11]
	v_fma_f64 v[120:121], v[201:202], s[6:7], v[241:242]
	;; [unrolled: 5-line block ×5, first 2 shown]
	v_add_f64_e32 v[24:25], v[120:121], v[24:25]
	v_fma_f64 v[120:121], v[203:204], s[14:15], -v[253:254]
	s_delay_alu instid0(VALU_DEP_1) | instskip(SKIP_2) | instid1(VALU_DEP_2)
	v_add_f64_e32 v[26:27], v[120:121], v[26:27]
	v_mul_f64_e32 v[120:121], s[38:39], v[118:119]
	v_mul_f64_e32 v[118:119], s[26:27], v[118:119]
	v_fma_f64 v[122:123], v[201:202], s[0:1], -v[120:121]
	v_fma_f64 v[120:121], v[201:202], s[0:1], v[120:121]
	s_delay_alu instid0(VALU_DEP_2) | instskip(SKIP_1) | instid1(VALU_DEP_3)
	v_add_f64_e32 v[30:31], v[122:123], v[30:31]
	v_mul_f64_e32 v[122:123], s[38:39], v[116:117]
	v_add_f64_e32 v[28:29], v[120:121], v[28:29]
	v_mul_f64_e32 v[116:117], s[26:27], v[116:117]
	s_delay_alu instid0(VALU_DEP_3) | instskip(SKIP_1) | instid1(VALU_DEP_2)
	v_fma_f64 v[120:121], v[203:204], s[0:1], -v[122:123]
	v_fma_f64 v[124:125], v[203:204], s[0:1], v[122:123]
	v_add_f64_e32 v[32:33], v[120:121], v[32:33]
	v_fma_f64 v[120:121], v[201:202], s[18:19], -v[118:119]
	v_fma_f64 v[118:119], v[201:202], s[18:19], v[118:119]
	s_delay_alu instid0(VALU_DEP_4) | instskip(NEXT) | instid1(VALU_DEP_3)
	v_add_f64_e32 v[34:35], v[124:125], v[34:35]
	v_add_f64_e32 v[60:61], v[120:121], v[60:61]
	v_fma_f64 v[120:121], v[203:204], s[18:19], v[116:117]
	s_delay_alu instid0(VALU_DEP_4) | instskip(SKIP_2) | instid1(VALU_DEP_4)
	v_add_f64_e32 v[2:3], v[118:119], v[2:3]
	v_fma_f64 v[116:117], v[203:204], s[18:19], -v[116:117]
	v_add_f64_e64 v[118:119], v[88:89], -v[64:65]
	v_add_f64_e32 v[62:63], v[120:121], v[62:63]
	v_add_f64_e64 v[120:121], v[90:91], -v[66:67]
	s_delay_alu instid0(VALU_DEP_4) | instskip(NEXT) | instid1(VALU_DEP_4)
	v_add_f64_e32 v[0:1], v[116:117], v[0:1]
	v_mul_f64_e32 v[116:117], s[26:27], v[118:119]
	v_mul_f64_e32 v[137:138], s[48:49], v[118:119]
	;; [unrolled: 1-line block ×10, first 2 shown]
	s_delay_alu instid0(VALU_DEP_4) | instskip(NEXT) | instid1(VALU_DEP_1)
	v_fma_f64 v[122:123], v[229:230], s[18:19], v[251:252]
	v_add_f64_e32 v[4:5], v[122:123], v[4:5]
	v_fma_f64 v[122:123], v[231:232], s[18:19], -v[116:117]
	s_delay_alu instid0(VALU_DEP_1) | instskip(SKIP_1) | instid1(VALU_DEP_1)
	v_add_f64_e32 v[6:7], v[122:123], v[6:7]
	v_fma_f64 v[122:123], v[229:230], s[16:17], v[134:135]
	v_add_f64_e32 v[8:9], v[122:123], v[8:9]
	v_fma_f64 v[122:123], v[231:232], s[16:17], -v[137:138]
	s_delay_alu instid0(VALU_DEP_1) | instskip(SKIP_1) | instid1(VALU_DEP_1)
	v_add_f64_e32 v[10:11], v[122:123], v[10:11]
	;; [unrolled: 5-line block ×4, first 2 shown]
	v_mul_f64_e32 v[122:123], s[36:37], v[120:121]
	v_fma_f64 v[139:140], v[229:230], s[14:15], v[122:123]
	s_delay_alu instid0(VALU_DEP_1) | instskip(SKIP_1) | instid1(VALU_DEP_1)
	v_add_f64_e32 v[20:21], v[139:140], v[20:21]
	v_fma_f64 v[139:140], v[231:232], s[14:15], -v[124:125]
	v_add_f64_e32 v[22:23], v[139:140], v[22:23]
	v_mul_f64_e32 v[139:140], s[46:47], v[120:121]
	s_delay_alu instid0(VALU_DEP_1) | instskip(NEXT) | instid1(VALU_DEP_1)
	v_fma_f64 v[141:142], v[229:230], s[6:7], v[139:140]
	v_add_f64_e32 v[24:25], v[141:142], v[24:25]
	v_fma_f64 v[141:142], v[231:232], s[6:7], -v[143:144]
	s_delay_alu instid0(VALU_DEP_1) | instskip(SKIP_2) | instid1(VALU_DEP_2)
	v_add_f64_e32 v[26:27], v[141:142], v[26:27]
	v_mul_f64_e32 v[141:142], s[34:35], v[120:121]
	v_mul_f64_e32 v[120:121], s[28:29], v[120:121]
	v_fma_f64 v[147:148], v[229:230], s[22:23], -v[141:142]
	v_fma_f64 v[141:142], v[229:230], s[22:23], v[141:142]
	s_delay_alu instid0(VALU_DEP_2) | instskip(SKIP_1) | instid1(VALU_DEP_3)
	v_add_f64_e32 v[30:31], v[147:148], v[30:31]
	v_mul_f64_e32 v[147:148], s[34:35], v[118:119]
	v_add_f64_e32 v[28:29], v[141:142], v[28:29]
	v_mul_f64_e32 v[118:119], s[28:29], v[118:119]
	s_delay_alu instid0(VALU_DEP_3) | instskip(SKIP_1) | instid1(VALU_DEP_2)
	v_fma_f64 v[141:142], v[231:232], s[22:23], -v[147:148]
	v_fma_f64 v[151:152], v[231:232], s[22:23], v[147:148]
	v_add_f64_e32 v[32:33], v[141:142], v[32:33]
	v_fma_f64 v[141:142], v[229:230], s[10:11], -v[120:121]
	s_delay_alu instid0(VALU_DEP_3) | instskip(SKIP_2) | instid1(VALU_DEP_4)
	v_add_f64_e32 v[34:35], v[151:152], v[34:35]
	v_fma_f64 v[120:121], v[229:230], s[10:11], v[120:121]
	v_add_f64_e64 v[151:152], v[96:97], -v[92:93]
	v_add_f64_e32 v[60:61], v[141:142], v[60:61]
	v_fma_f64 v[141:142], v[231:232], s[10:11], v[118:119]
	v_fma_f64 v[118:119], v[231:232], s[10:11], -v[118:119]
	v_add_f64_e32 v[2:3], v[120:121], v[2:3]
	v_add_f64_e32 v[120:121], v[98:99], v[94:95]
	v_mul_f64_e32 v[147:148], s[30:31], v[151:152]
	v_mul_f64_e32 v[169:170], s[28:29], v[151:152]
	;; [unrolled: 1-line block ×6, first 2 shown]
	v_add_f64_e32 v[62:63], v[141:142], v[62:63]
	v_add_f64_e32 v[0:1], v[118:119], v[0:1]
	;; [unrolled: 1-line block ×3, first 2 shown]
	v_mul_f64_e32 v[141:142], s[30:31], v[153:154]
	s_delay_alu instid0(VALU_DEP_1) | instskip(NEXT) | instid1(VALU_DEP_1)
	v_fma_f64 v[155:156], v[118:119], s[20:21], v[141:142]
	v_add_f64_e32 v[4:5], v[155:156], v[4:5]
	v_fma_f64 v[155:156], v[120:121], s[20:21], -v[147:148]
	s_delay_alu instid0(VALU_DEP_1) | instskip(SKIP_1) | instid1(VALU_DEP_1)
	v_add_f64_e32 v[6:7], v[155:156], v[6:7]
	v_fma_f64 v[155:156], v[118:119], s[10:11], v[167:168]
	v_add_f64_e32 v[187:188], v[155:156], v[8:9]
	v_fma_f64 v[8:9], v[120:121], s[10:11], -v[169:170]
	v_mul_f64_e32 v[155:156], s[38:39], v[153:154]
	v_mul_f64_e32 v[153:154], s[24:25], v[153:154]
	s_delay_alu instid0(VALU_DEP_3) | instskip(SKIP_2) | instid1(VALU_DEP_2)
	v_add_f64_e32 v[189:190], v[8:9], v[10:11]
	v_fma_f64 v[8:9], v[118:119], s[14:15], v[163:164]
	v_fma_f64 v[10:11], v[120:121], s[14:15], -v[165:166]
	v_add_f64_e32 v[8:9], v[8:9], v[12:13]
	v_fma_f64 v[12:13], v[118:119], s[18:19], v[159:160]
	s_delay_alu instid0(VALU_DEP_3) | instskip(SKIP_1) | instid1(VALU_DEP_3)
	v_add_f64_e32 v[10:11], v[10:11], v[14:15]
	v_fma_f64 v[14:15], v[120:121], s[18:19], -v[161:162]
	v_add_f64_e32 v[12:13], v[12:13], v[16:17]
	v_fma_f64 v[16:17], v[118:119], s[0:1], v[155:156]
	s_delay_alu instid0(VALU_DEP_3) | instskip(SKIP_1) | instid1(VALU_DEP_3)
	v_add_f64_e32 v[14:15], v[14:15], v[18:19]
	;; [unrolled: 5-line block ×3, first 2 shown]
	v_fma_f64 v[22:23], v[120:121], s[22:23], -v[181:182]
	v_add_f64_e32 v[20:21], v[20:21], v[24:25]
	v_fma_f64 v[24:25], v[118:119], s[6:7], -v[171:172]
	s_delay_alu instid0(VALU_DEP_3) | instskip(NEXT) | instid1(VALU_DEP_2)
	v_add_f64_e32 v[22:23], v[22:23], v[26:27]
	v_add_f64_e32 v[24:25], v[24:25], v[30:31]
	v_mul_f64_e32 v[30:31], s[40:41], v[151:152]
	v_mul_f64_e32 v[151:152], s[24:25], v[151:152]
	s_delay_alu instid0(VALU_DEP_2) | instskip(SKIP_1) | instid1(VALU_DEP_2)
	v_fma_f64 v[26:27], v[120:121], s[6:7], v[30:31]
	v_fma_f64 v[30:31], v[120:121], s[6:7], -v[30:31]
	v_add_f64_e32 v[26:27], v[26:27], v[34:35]
	s_delay_alu instid0(VALU_DEP_2) | instskip(SKIP_3) | instid1(VALU_DEP_3)
	v_add_f64_e32 v[30:31], v[30:31], v[32:33]
	v_fma_f64 v[32:33], v[118:119], s[16:17], -v[153:154]
	v_fma_f64 v[34:35], v[118:119], s[6:7], v[171:172]
	v_mul_f64_e32 v[171:172], s[34:35], v[209:210]
	v_add_f64_e32 v[32:33], v[32:33], v[60:61]
	v_fma_f64 v[60:61], v[118:119], s[16:17], v[153:154]
	s_delay_alu instid0(VALU_DEP_4) | instskip(SKIP_2) | instid1(VALU_DEP_4)
	v_add_f64_e32 v[28:29], v[34:35], v[28:29]
	v_fma_f64 v[34:35], v[120:121], s[16:17], v[151:152]
	v_add_f64_e32 v[153:154], v[102:103], v[106:107]
	v_add_f64_e32 v[60:61], v[60:61], v[2:3]
	v_fma_f64 v[2:3], v[120:121], s[16:17], -v[151:152]
	v_add_f64_e32 v[151:152], v[100:101], v[104:105]
	v_add_f64_e32 v[34:35], v[34:35], v[62:63]
	s_delay_alu instid0(VALU_DEP_3) | instskip(NEXT) | instid1(VALU_DEP_3)
	v_add_f64_e32 v[62:63], v[2:3], v[0:1]
	v_fma_f64 v[0:1], v[151:152], s[22:23], v[171:172]
	v_fma_f64 v[2:3], v[153:154], s[22:23], -v[175:176]
	s_delay_alu instid0(VALU_DEP_2) | instskip(SKIP_1) | instid1(VALU_DEP_3)
	v_add_f64_e32 v[0:1], v[0:1], v[4:5]
	v_fma_f64 v[4:5], v[151:152], s[0:1], v[183:184]
	v_add_f64_e32 v[2:3], v[2:3], v[6:7]
	v_fma_f64 v[6:7], v[153:154], s[0:1], -v[185:186]
	s_delay_alu instid0(VALU_DEP_3) | instskip(SKIP_1) | instid1(VALU_DEP_3)
	v_add_f64_e32 v[4:5], v[4:5], v[187:188]
	v_mul_f64_e32 v[187:188], s[30:31], v[209:210]
	v_add_f64_e32 v[6:7], v[6:7], v[189:190]
	v_mul_f64_e32 v[189:190], s[30:31], v[199:200]
	s_delay_alu instid0(VALU_DEP_3) | instskip(NEXT) | instid1(VALU_DEP_1)
	v_fma_f64 v[191:192], v[151:152], s[20:21], v[187:188]
	v_add_f64_e32 v[8:9], v[191:192], v[8:9]
	s_delay_alu instid0(VALU_DEP_3) | instskip(NEXT) | instid1(VALU_DEP_1)
	v_fma_f64 v[191:192], v[153:154], s[20:21], -v[189:190]
	v_add_f64_e32 v[10:11], v[191:192], v[10:11]
	v_mul_f64_e32 v[191:192], s[40:41], v[209:210]
	s_delay_alu instid0(VALU_DEP_1) | instskip(NEXT) | instid1(VALU_DEP_1)
	v_fma_f64 v[195:196], v[151:152], s[6:7], v[191:192]
	v_add_f64_e32 v[12:13], v[195:196], v[12:13]
	v_fma_f64 v[195:196], v[153:154], s[6:7], -v[193:194]
	s_delay_alu instid0(VALU_DEP_1) | instskip(SKIP_1) | instid1(VALU_DEP_1)
	v_add_f64_e32 v[14:15], v[195:196], v[14:15]
	v_mul_f64_e32 v[195:196], s[26:27], v[209:210]
	v_fma_f64 v[205:206], v[151:152], s[18:19], v[195:196]
	s_delay_alu instid0(VALU_DEP_1) | instskip(SKIP_1) | instid1(VALU_DEP_1)
	v_add_f64_e32 v[16:17], v[205:206], v[16:17]
	v_fma_f64 v[205:206], v[153:154], s[18:19], -v[197:198]
	v_add_f64_e32 v[18:19], v[205:206], v[18:19]
	v_mul_f64_e32 v[205:206], s[28:29], v[209:210]
	s_delay_alu instid0(VALU_DEP_1) | instskip(NEXT) | instid1(VALU_DEP_1)
	v_fma_f64 v[211:212], v[151:152], s[10:11], v[205:206]
	v_add_f64_e32 v[20:21], v[211:212], v[20:21]
	v_fma_f64 v[211:212], v[153:154], s[10:11], -v[207:208]
	s_delay_alu instid0(VALU_DEP_1) | instskip(SKIP_2) | instid1(VALU_DEP_2)
	v_add_f64_e32 v[22:23], v[211:212], v[22:23]
	v_mul_f64_e32 v[211:212], s[24:25], v[209:210]
	v_mul_f64_e32 v[209:210], s[36:37], v[209:210]
	v_fma_f64 v[213:214], v[151:152], s[16:17], -v[211:212]
	v_fma_f64 v[211:212], v[151:152], s[16:17], v[211:212]
	s_delay_alu instid0(VALU_DEP_2) | instskip(SKIP_1) | instid1(VALU_DEP_3)
	v_add_f64_e32 v[24:25], v[213:214], v[24:25]
	v_mul_f64_e32 v[213:214], s[24:25], v[199:200]
	v_add_f64_e32 v[28:29], v[211:212], v[28:29]
	v_mul_f64_e32 v[199:200], s[36:37], v[199:200]
	s_delay_alu instid0(VALU_DEP_3) | instskip(SKIP_1) | instid1(VALU_DEP_2)
	v_fma_f64 v[211:212], v[153:154], s[16:17], -v[213:214]
	v_fma_f64 v[215:216], v[153:154], s[16:17], v[213:214]
	v_add_f64_e32 v[30:31], v[211:212], v[30:31]
	v_fma_f64 v[211:212], v[151:152], s[14:15], -v[209:210]
	v_fma_f64 v[209:210], v[151:152], s[14:15], v[209:210]
	s_delay_alu instid0(VALU_DEP_4) | instskip(NEXT) | instid1(VALU_DEP_3)
	v_add_f64_e32 v[26:27], v[215:216], v[26:27]
	v_add_f64_e32 v[32:33], v[211:212], v[32:33]
	v_fma_f64 v[211:212], v[153:154], s[14:15], v[199:200]
	v_fma_f64 v[199:200], v[153:154], s[14:15], -v[199:200]
	v_add_f64_e32 v[60:61], v[209:210], v[60:61]
	s_delay_alu instid0(VALU_DEP_3) | instskip(NEXT) | instid1(VALU_DEP_3)
	v_add_f64_e32 v[34:35], v[211:212], v[34:35]
	v_add_f64_e32 v[62:63], v[199:200], v[62:63]
	v_mul_lo_u16 v199, v136, 17
	s_and_saveexec_b32 s24, vcc_lo
	s_cbranch_execz .LBB0_7
; %bb.6:
	v_add_f64_e32 v[70:71], v[38:39], v[70:71]
	v_add_f64_e32 v[68:69], v[36:37], v[68:69]
	s_delay_alu instid0(VALU_DEP_2) | instskip(NEXT) | instid1(VALU_DEP_2)
	v_add_f64_e32 v[70:71], v[70:71], v[74:75]
	v_add_f64_e32 v[68:69], v[68:69], v[72:73]
	scratch_load_b64 v[72:73], off, off offset:8 th:TH_LOAD_LU ; 8-byte Folded Reload
	v_add_f64_e32 v[70:71], v[70:71], v[78:79]
	v_add_f64_e32 v[68:69], v[68:69], v[76:77]
	v_mul_f64_e32 v[76:77], s[0:1], v[145:146]
	scratch_load_b64 v[78:79], off, off offset:320 th:TH_LOAD_LU ; 8-byte Folded Reload
	v_add_f64_e32 v[70:71], v[70:71], v[82:83]
	v_add_f64_e32 v[68:69], v[68:69], v[80:81]
	scratch_load_b64 v[80:81], off, off offset:224 th:TH_LOAD_LU ; 8-byte Folded Reload
	v_mul_f64_e32 v[82:83], s[14:15], v[201:202]
	v_add_f64_e32 v[70:71], v[70:71], v[86:87]
	v_add_f64_e32 v[68:69], v[68:69], v[84:85]
	v_mul_f64_e32 v[84:85], s[6:7], v[231:232]
	s_delay_alu instid0(VALU_DEP_4) | instskip(NEXT) | instid1(VALU_DEP_4)
	v_add_f64_e64 v[82:83], v[82:83], -v[249:250]
	v_add_f64_e32 v[70:71], v[70:71], v[90:91]
	s_delay_alu instid0(VALU_DEP_4) | instskip(NEXT) | instid1(VALU_DEP_4)
	v_add_f64_e32 v[68:69], v[68:69], v[88:89]
	v_add_f64_e32 v[84:85], v[143:144], v[84:85]
	s_delay_alu instid0(VALU_DEP_3) | instskip(NEXT) | instid1(VALU_DEP_3)
	v_add_f64_e32 v[70:71], v[70:71], v[98:99]
	v_add_f64_e32 v[68:69], v[68:69], v[96:97]
	s_delay_alu instid0(VALU_DEP_2) | instskip(NEXT) | instid1(VALU_DEP_2)
	v_add_f64_e32 v[70:71], v[70:71], v[102:103]
	v_add_f64_e32 v[68:69], v[68:69], v[100:101]
	s_delay_alu instid0(VALU_DEP_2) | instskip(NEXT) | instid1(VALU_DEP_2)
	;; [unrolled: 3-line block ×4, first 2 shown]
	v_add_f64_e32 v[66:67], v[70:71], v[66:67]
	v_add_f64_e32 v[64:65], v[68:69], v[64:65]
	s_clause 0x1
	scratch_load_b64 v[68:69], off, off offset:32 th:TH_LOAD_LU
	scratch_load_b64 v[70:71], off, off offset:16 th:TH_LOAD_LU
	s_wait_loadcnt 0x3
	v_add_f64_e64 v[76:77], v[76:77], -v[78:79]
	v_mul_f64_e32 v[78:79], s[16:17], v[108:109]
	v_add_f64_e32 v[58:59], v[66:67], v[58:59]
	v_add_f64_e32 v[56:57], v[64:65], v[56:57]
	s_clause 0x1
	scratch_load_b64 v[64:65], off, off offset:64 th:TH_LOAD_LU
	scratch_load_b64 v[66:67], off, off offset:48 th:TH_LOAD_LU
	s_wait_loadcnt 0x4
	v_add_f64_e64 v[78:79], v[78:79], -v[80:81]
	v_mul_f64_e32 v[80:81], s[14:15], v[203:204]
	v_add_f64_e32 v[54:55], v[58:59], v[54:55]
	v_add_f64_e32 v[52:53], v[56:57], v[52:53]
	s_clause 0x1
	scratch_load_b64 v[56:57], off, off offset:80 th:TH_LOAD_LU
	scratch_load_b64 v[58:59], off, off offset:72 th:TH_LOAD_LU
	v_add_f64_e32 v[80:81], v[253:254], v[80:81]
	v_add_f64_e32 v[50:51], v[54:55], v[50:51]
	;; [unrolled: 1-line block ×3, first 2 shown]
	s_clause 0x1
	scratch_load_b64 v[52:53], off, off offset:96 th:TH_LOAD_LU
	scratch_load_b64 v[54:55], off, off offset:88 th:TH_LOAD_LU
	v_add_f64_e32 v[46:47], v[50:51], v[46:47]
	v_add_f64_e32 v[44:45], v[48:49], v[44:45]
	s_clause 0x1
	scratch_load_b64 v[48:49], off, off offset:120 th:TH_LOAD_LU
	scratch_load_b64 v[50:51], off, off offset:112 th:TH_LOAD_LU
	v_add_f64_e32 v[42:43], v[46:47], v[42:43]
	scratch_load_b64 v[46:47], off, off offset:128 th:TH_LOAD_LU ; 8-byte Folded Reload
	v_add_f64_e32 v[40:41], v[44:45], v[40:41]
	v_mul_f64_e32 v[44:45], s[18:19], v[114:115]
	s_wait_loadcnt 0x0
	s_delay_alu instid0(VALU_DEP_1) | instskip(SKIP_1) | instid1(VALU_DEP_2)
	v_add_f64_e32 v[44:45], v[46:47], v[44:45]
	v_mul_f64_e32 v[46:47], s[18:19], v[112:113]
	v_add_f64_e32 v[44:45], v[38:39], v[44:45]
	s_delay_alu instid0(VALU_DEP_2) | instskip(SKIP_1) | instid1(VALU_DEP_2)
	v_add_f64_e64 v[46:47], v[46:47], -v[48:49]
	v_mul_f64_e32 v[48:49], s[16:17], v[114:115]
	v_add_f64_e32 v[46:47], v[36:37], v[46:47]
	s_delay_alu instid0(VALU_DEP_2) | instskip(SKIP_1) | instid1(VALU_DEP_3)
	v_add_f64_e32 v[48:49], v[50:51], v[48:49]
	v_mul_f64_e32 v[50:51], s[16:17], v[112:113]
	v_add_f64_e32 v[46:47], v[78:79], v[46:47]
	scratch_load_b64 v[78:79], off, off offset:304 th:TH_LOAD_LU ; 8-byte Folded Reload
	v_add_f64_e64 v[50:51], v[50:51], -v[52:53]
	v_mul_f64_e32 v[52:53], s[14:15], v[114:115]
	s_delay_alu instid0(VALU_DEP_2) | instskip(NEXT) | instid1(VALU_DEP_2)
	v_add_f64_e32 v[74:75], v[36:37], v[50:51]
	v_add_f64_e32 v[52:53], v[54:55], v[52:53]
	v_mul_f64_e32 v[54:55], s[14:15], v[112:113]
	s_delay_alu instid0(VALU_DEP_2) | instskip(NEXT) | instid1(VALU_DEP_2)
	v_add_f64_e32 v[52:53], v[38:39], v[52:53]
	v_add_f64_e64 v[54:55], v[54:55], -v[56:57]
	v_mul_f64_e32 v[56:57], s[10:11], v[114:115]
	s_delay_alu instid0(VALU_DEP_2) | instskip(NEXT) | instid1(VALU_DEP_2)
	v_add_f64_e32 v[54:55], v[36:37], v[54:55]
	v_add_f64_e32 v[56:57], v[58:59], v[56:57]
	v_mul_f64_e32 v[58:59], s[10:11], v[112:113]
	s_delay_alu instid0(VALU_DEP_1) | instskip(SKIP_1) | instid1(VALU_DEP_2)
	v_add_f64_e64 v[58:59], v[58:59], -v[64:65]
	v_mul_f64_e32 v[64:65], s[6:7], v[114:115]
	v_add_f64_e32 v[50:51], v[36:37], v[58:59]
	s_delay_alu instid0(VALU_DEP_2) | instskip(SKIP_1) | instid1(VALU_DEP_1)
	v_add_f64_e32 v[64:65], v[66:67], v[64:65]
	v_mul_f64_e32 v[66:67], s[6:7], v[112:113]
	v_add_f64_e64 v[66:67], v[66:67], -v[68:69]
	v_mul_f64_e32 v[68:69], s[0:1], v[114:115]
	s_delay_alu instid0(VALU_DEP_2) | instskip(NEXT) | instid1(VALU_DEP_2)
	v_add_f64_e32 v[58:59], v[36:37], v[66:67]
	v_add_f64_e32 v[68:69], v[70:71], v[68:69]
	v_mul_f64_e32 v[70:71], s[0:1], v[112:113]
	s_delay_alu instid0(VALU_DEP_1)
	v_add_f64_e64 v[70:71], v[70:71], -v[72:73]
	v_add_f64_e32 v[72:73], v[38:39], v[48:49]
	v_add_f64_e32 v[48:49], v[38:39], v[56:57]
	;; [unrolled: 1-line block ×4, first 2 shown]
	scratch_load_b64 v[68:69], off, off offset:328 th:TH_LOAD_LU ; 8-byte Folded Reload
	v_mul_f64_e32 v[38:39], s[0:1], v[149:150]
	v_add_f64_e32 v[66:67], v[36:37], v[70:71]
	scratch_load_b64 v[70:71], off, off offset:232 th:TH_LOAD_LU ; 8-byte Folded Reload
	v_mul_f64_e32 v[36:37], s[20:21], v[177:178]
	s_delay_alu instid0(VALU_DEP_1) | instskip(SKIP_4) | instid1(VALU_DEP_1)
	v_add_f64_e32 v[36:37], v[227:228], v[36:37]
	s_wait_loadcnt 0x1
	v_add_f64_e32 v[38:39], v[68:69], v[38:39]
	v_mul_f64_e32 v[68:69], s[16:17], v[110:111]
	s_wait_loadcnt 0x0
	v_add_f64_e32 v[68:69], v[70:71], v[68:69]
	v_mul_f64_e32 v[70:71], s[20:21], v[173:174]
	s_delay_alu instid0(VALU_DEP_2) | instskip(NEXT) | instid1(VALU_DEP_2)
	v_add_f64_e32 v[44:45], v[68:69], v[44:45]
	v_add_f64_e64 v[70:71], v[70:71], -v[221:222]
	v_mul_f64_e32 v[68:69], s[6:7], v[229:230]
	s_delay_alu instid0(VALU_DEP_3) | instskip(SKIP_1) | instid1(VALU_DEP_3)
	v_add_f64_e32 v[38:39], v[38:39], v[44:45]
	v_add_f64_e32 v[44:45], v[76:77], v[46:47]
	v_add_f64_e64 v[68:69], v[68:69], -v[139:140]
	v_mul_f64_e32 v[46:47], s[22:23], v[120:121]
	v_mul_f64_e32 v[76:77], s[18:19], v[145:146]
	v_add_f64_e32 v[36:37], v[36:37], v[38:39]
	v_add_f64_e32 v[38:39], v[70:71], v[44:45]
	v_mul_f64_e32 v[44:45], s[22:23], v[118:119]
	v_add_f64_e32 v[46:47], v[181:182], v[46:47]
	v_mul_f64_e32 v[70:71], s[10:11], v[153:154]
	v_add_f64_e64 v[76:77], v[76:77], -v[78:79]
	v_mul_f64_e32 v[78:79], s[14:15], v[108:109]
	v_add_f64_e32 v[36:37], v[80:81], v[36:37]
	v_add_f64_e32 v[38:39], v[82:83], v[38:39]
	v_add_f64_e64 v[44:45], v[44:45], -v[179:180]
	scratch_load_b64 v[80:81], off, off offset:208 th:TH_LOAD_LU ; 8-byte Folded Reload
	v_add_f64_e32 v[70:71], v[207:208], v[70:71]
	v_mul_f64_e32 v[82:83], s[20:21], v[201:202]
	v_add_f64_e32 v[36:37], v[84:85], v[36:37]
	v_add_f64_e32 v[38:39], v[68:69], v[38:39]
	v_mul_f64_e32 v[68:69], s[10:11], v[151:152]
	v_mul_f64_e32 v[84:85], s[16:17], v[231:232]
	v_add_f64_e64 v[82:83], v[82:83], -v[245:246]
	v_add_f64_e32 v[36:37], v[46:47], v[36:37]
	v_add_f64_e32 v[44:45], v[44:45], v[38:39]
	v_add_f64_e64 v[68:69], v[68:69], -v[205:206]
	v_mul_f64_e32 v[46:47], s[18:19], v[149:150]
	v_add_f64_e32 v[84:85], v[137:138], v[84:85]
	v_add_f64_e32 v[38:39], v[70:71], v[36:37]
	scratch_load_b64 v[70:71], off, off offset:216 th:TH_LOAD_LU ; 8-byte Folded Reload
	v_add_f64_e32 v[36:37], v[68:69], v[44:45]
	scratch_load_b64 v[68:69], off, off offset:312 th:TH_LOAD_LU ; 8-byte Folded Reload
	v_mul_f64_e32 v[44:45], s[22:23], v[177:178]
	s_delay_alu instid0(VALU_DEP_1) | instskip(SKIP_3) | instid1(VALU_DEP_2)
	v_add_f64_e32 v[44:45], v[219:220], v[44:45]
	s_wait_loadcnt 0x2
	v_add_f64_e64 v[78:79], v[78:79], -v[80:81]
	v_mul_f64_e32 v[80:81], s[20:21], v[203:204]
	v_add_f64_e32 v[58:59], v[78:79], v[58:59]
	s_delay_alu instid0(VALU_DEP_2) | instskip(SKIP_4) | instid1(VALU_DEP_1)
	v_add_f64_e32 v[80:81], v[247:248], v[80:81]
	scratch_load_b64 v[78:79], off, off offset:288 th:TH_LOAD_LU ; 8-byte Folded Reload
	s_wait_loadcnt 0x1
	v_add_f64_e32 v[46:47], v[68:69], v[46:47]
	v_mul_f64_e32 v[68:69], s[14:15], v[110:111]
	v_add_f64_e32 v[68:69], v[70:71], v[68:69]
	v_mul_f64_e32 v[70:71], s[22:23], v[173:174]
	s_delay_alu instid0(VALU_DEP_2) | instskip(NEXT) | instid1(VALU_DEP_2)
	v_add_f64_e32 v[56:57], v[68:69], v[56:57]
	v_add_f64_e64 v[70:71], v[70:71], -v[217:218]
	v_mul_f64_e32 v[68:69], s[16:17], v[229:230]
	s_delay_alu instid0(VALU_DEP_3) | instskip(SKIP_1) | instid1(VALU_DEP_3)
	v_add_f64_e32 v[46:47], v[46:47], v[56:57]
	v_add_f64_e32 v[56:57], v[76:77], v[58:59]
	v_add_f64_e64 v[68:69], v[68:69], -v[134:135]
	v_mul_f64_e32 v[58:59], s[10:11], v[120:121]
	scratch_load_b64 v[76:77], off, off offset:384 th:TH_LOAD_LU ; 8-byte Folded Reload
	v_add_f64_e32 v[44:45], v[44:45], v[46:47]
	v_add_f64_e32 v[46:47], v[70:71], v[56:57]
	v_mul_f64_e32 v[56:57], s[10:11], v[118:119]
	v_add_f64_e32 v[58:59], v[169:170], v[58:59]
	v_mul_f64_e32 v[70:71], s[0:1], v[153:154]
	v_add_f64_e32 v[44:45], v[80:81], v[44:45]
	v_add_f64_e32 v[46:47], v[82:83], v[46:47]
	v_add_f64_e64 v[56:57], v[56:57], -v[167:168]
	scratch_load_b64 v[80:81], off, off offset:192 th:TH_LOAD_LU ; 8-byte Folded Reload
	v_add_f64_e32 v[70:71], v[185:186], v[70:71]
	v_mul_f64_e32 v[82:83], s[6:7], v[201:202]
	v_add_f64_e32 v[44:45], v[84:85], v[44:45]
	v_add_f64_e32 v[46:47], v[68:69], v[46:47]
	v_mul_f64_e32 v[68:69], s[0:1], v[151:152]
	v_mul_f64_e32 v[84:85], s[0:1], v[231:232]
	v_add_f64_e64 v[82:83], v[82:83], -v[241:242]
	v_add_f64_e32 v[44:45], v[58:59], v[44:45]
	v_add_f64_e32 v[56:57], v[56:57], v[46:47]
	v_add_f64_e64 v[68:69], v[68:69], -v[183:184]
	scratch_load_b64 v[58:59], off, off offset:392 th:TH_LOAD_LU ; 8-byte Folded Reload
	v_add_f64_e32 v[84:85], v[132:133], v[84:85]
	v_add_f64_e32 v[46:47], v[70:71], v[44:45]
	scratch_load_b64 v[70:71], off, off offset:200 th:TH_LOAD_LU ; 8-byte Folded Reload
	v_add_f64_e32 v[44:45], v[68:69], v[56:57]
	scratch_load_b64 v[68:69], off, off offset:296 th:TH_LOAD_LU ; 8-byte Folded Reload
	v_mul_f64_e32 v[56:57], s[16:17], v[177:178]
	s_wait_loadcnt 0x2
	s_delay_alu instid0(VALU_DEP_1) | instskip(SKIP_2) | instid1(VALU_DEP_1)
	v_add_f64_e32 v[56:57], v[58:59], v[56:57]
	v_mul_f64_e32 v[58:59], s[22:23], v[149:150]
	s_wait_loadcnt 0x0
	v_add_f64_e32 v[58:59], v[68:69], v[58:59]
	v_mul_f64_e32 v[68:69], s[18:19], v[110:111]
	s_delay_alu instid0(VALU_DEP_1) | instskip(SKIP_1) | instid1(VALU_DEP_2)
	v_add_f64_e32 v[68:69], v[70:71], v[68:69]
	v_mul_f64_e32 v[70:71], s[16:17], v[173:174]
	v_add_f64_e32 v[48:49], v[68:69], v[48:49]
	s_delay_alu instid0(VALU_DEP_2) | instskip(SKIP_2) | instid1(VALU_DEP_4)
	v_add_f64_e64 v[70:71], v[70:71], -v[76:77]
	v_mul_f64_e32 v[76:77], s[22:23], v[145:146]
	v_mul_f64_e32 v[68:69], s[0:1], v[229:230]
	v_add_f64_e32 v[48:49], v[58:59], v[48:49]
	v_mul_f64_e32 v[58:59], s[14:15], v[120:121]
	s_delay_alu instid0(VALU_DEP_4)
	v_add_f64_e64 v[76:77], v[76:77], -v[78:79]
	v_mul_f64_e32 v[78:79], s[18:19], v[108:109]
	v_add_f64_e64 v[68:69], v[68:69], -v[130:131]
	v_add_f64_e32 v[48:49], v[56:57], v[48:49]
	v_mul_f64_e32 v[56:57], s[14:15], v[118:119]
	v_add_f64_e32 v[58:59], v[165:166], v[58:59]
	v_add_f64_e64 v[78:79], v[78:79], -v[80:81]
	v_mul_f64_e32 v[80:81], s[6:7], v[203:204]
	s_delay_alu instid0(VALU_DEP_4) | instskip(NEXT) | instid1(VALU_DEP_3)
	v_add_f64_e64 v[56:57], v[56:57], -v[163:164]
	v_add_f64_e32 v[50:51], v[78:79], v[50:51]
	s_delay_alu instid0(VALU_DEP_3)
	v_add_f64_e32 v[80:81], v[243:244], v[80:81]
	scratch_load_b64 v[78:79], off, off offset:272 th:TH_LOAD_LU ; 8-byte Folded Reload
	v_add_f64_e32 v[50:51], v[76:77], v[50:51]
	v_add_f64_e32 v[48:49], v[80:81], v[48:49]
	s_clause 0x1
	scratch_load_b64 v[76:77], off, off offset:368 th:TH_LOAD_LU
	scratch_load_b64 v[80:81], off, off offset:176 th:TH_LOAD_LU
	v_add_f64_e32 v[50:51], v[70:71], v[50:51]
	v_mul_f64_e32 v[70:71], s[20:21], v[153:154]
	v_add_f64_e32 v[48:49], v[84:85], v[48:49]
	v_mul_f64_e32 v[84:85], s[20:21], v[231:232]
	s_delay_alu instid0(VALU_DEP_4) | instskip(NEXT) | instid1(VALU_DEP_4)
	v_add_f64_e32 v[50:51], v[82:83], v[50:51]
	v_add_f64_e32 v[70:71], v[189:190], v[70:71]
	s_delay_alu instid0(VALU_DEP_4)
	v_add_f64_e32 v[48:49], v[58:59], v[48:49]
	scratch_load_b64 v[58:59], off, off offset:376 th:TH_LOAD_LU ; 8-byte Folded Reload
	v_mul_f64_e32 v[82:83], s[10:11], v[201:202]
	v_add_f64_e32 v[84:85], v[128:129], v[84:85]
	v_add_f64_e32 v[50:51], v[68:69], v[50:51]
	v_mul_f64_e32 v[68:69], s[20:21], v[151:152]
	s_delay_alu instid0(VALU_DEP_4) | instskip(NEXT) | instid1(VALU_DEP_3)
	v_add_f64_e64 v[82:83], v[82:83], -v[237:238]
	v_add_f64_e32 v[56:57], v[56:57], v[50:51]
	s_delay_alu instid0(VALU_DEP_3)
	v_add_f64_e64 v[68:69], v[68:69], -v[187:188]
	v_add_f64_e32 v[50:51], v[70:71], v[48:49]
	scratch_load_b64 v[70:71], off, off offset:184 th:TH_LOAD_LU ; 8-byte Folded Reload
	v_add_f64_e32 v[48:49], v[68:69], v[56:57]
	scratch_load_b64 v[68:69], off, off offset:280 th:TH_LOAD_LU ; 8-byte Folded Reload
	v_mul_f64_e32 v[56:57], s[0:1], v[177:178]
	s_wait_loadcnt 0x2
	s_delay_alu instid0(VALU_DEP_1) | instskip(SKIP_2) | instid1(VALU_DEP_1)
	v_add_f64_e32 v[56:57], v[58:59], v[56:57]
	v_mul_f64_e32 v[58:59], s[16:17], v[149:150]
	s_wait_loadcnt 0x0
	v_add_f64_e32 v[58:59], v[68:69], v[58:59]
	v_mul_f64_e32 v[68:69], s[22:23], v[110:111]
	s_delay_alu instid0(VALU_DEP_1) | instskip(SKIP_1) | instid1(VALU_DEP_2)
	v_add_f64_e32 v[68:69], v[70:71], v[68:69]
	v_mul_f64_e32 v[70:71], s[0:1], v[173:174]
	v_add_f64_e32 v[52:53], v[68:69], v[52:53]
	s_delay_alu instid0(VALU_DEP_2) | instskip(SKIP_2) | instid1(VALU_DEP_4)
	v_add_f64_e64 v[70:71], v[70:71], -v[76:77]
	v_mul_f64_e32 v[76:77], s[16:17], v[145:146]
	v_mul_f64_e32 v[68:69], s[20:21], v[229:230]
	v_add_f64_e32 v[52:53], v[58:59], v[52:53]
	v_mul_f64_e32 v[58:59], s[18:19], v[120:121]
	s_delay_alu instid0(VALU_DEP_4)
	v_add_f64_e64 v[76:77], v[76:77], -v[78:79]
	v_mul_f64_e32 v[78:79], s[22:23], v[108:109]
	v_add_f64_e64 v[68:69], v[68:69], -v[126:127]
	v_add_f64_e32 v[52:53], v[56:57], v[52:53]
	v_mul_f64_e32 v[56:57], s[18:19], v[118:119]
	v_add_f64_e32 v[58:59], v[161:162], v[58:59]
	v_add_f64_e64 v[78:79], v[78:79], -v[80:81]
	v_mul_f64_e32 v[80:81], s[10:11], v[203:204]
	s_delay_alu instid0(VALU_DEP_4) | instskip(NEXT) | instid1(VALU_DEP_3)
	v_add_f64_e64 v[56:57], v[56:57], -v[159:160]
	v_add_f64_e32 v[54:55], v[78:79], v[54:55]
	s_delay_alu instid0(VALU_DEP_3)
	v_add_f64_e32 v[80:81], v[239:240], v[80:81]
	scratch_load_b64 v[78:79], off, off offset:256 th:TH_LOAD_LU ; 8-byte Folded Reload
	v_add_f64_e32 v[54:55], v[76:77], v[54:55]
	v_add_f64_e32 v[52:53], v[80:81], v[52:53]
	s_clause 0x1
	scratch_load_b64 v[76:77], off, off offset:352 th:TH_LOAD_LU
	scratch_load_b64 v[80:81], off, off offset:160 th:TH_LOAD_LU
	v_add_f64_e32 v[54:55], v[70:71], v[54:55]
	v_mul_f64_e32 v[70:71], s[6:7], v[153:154]
	v_add_f64_e32 v[52:53], v[84:85], v[52:53]
	v_mul_f64_e32 v[84:85], s[14:15], v[231:232]
	s_delay_alu instid0(VALU_DEP_4) | instskip(NEXT) | instid1(VALU_DEP_4)
	v_add_f64_e32 v[54:55], v[82:83], v[54:55]
	v_add_f64_e32 v[70:71], v[193:194], v[70:71]
	s_delay_alu instid0(VALU_DEP_4)
	v_add_f64_e32 v[52:53], v[58:59], v[52:53]
	scratch_load_b64 v[58:59], off, off offset:360 th:TH_LOAD_LU ; 8-byte Folded Reload
	v_mul_f64_e32 v[82:83], s[22:23], v[201:202]
	v_add_f64_e32 v[84:85], v[124:125], v[84:85]
	v_add_f64_e32 v[54:55], v[68:69], v[54:55]
	v_mul_f64_e32 v[68:69], s[6:7], v[151:152]
	s_delay_alu instid0(VALU_DEP_4) | instskip(NEXT) | instid1(VALU_DEP_3)
	v_add_f64_e64 v[82:83], v[82:83], -v[233:234]
	v_add_f64_e32 v[56:57], v[56:57], v[54:55]
	s_delay_alu instid0(VALU_DEP_3)
	v_add_f64_e64 v[68:69], v[68:69], -v[191:192]
	v_add_f64_e32 v[54:55], v[70:71], v[52:53]
	scratch_load_b64 v[70:71], off, off offset:168 th:TH_LOAD_LU ; 8-byte Folded Reload
	v_add_f64_e32 v[52:53], v[68:69], v[56:57]
	scratch_load_b64 v[68:69], off, off offset:264 th:TH_LOAD_LU ; 8-byte Folded Reload
	v_mul_f64_e32 v[56:57], s[10:11], v[177:178]
	s_wait_loadcnt 0x2
	s_delay_alu instid0(VALU_DEP_1) | instskip(SKIP_2) | instid1(VALU_DEP_1)
	v_add_f64_e32 v[56:57], v[58:59], v[56:57]
	v_mul_f64_e32 v[58:59], s[6:7], v[149:150]
	s_wait_loadcnt 0x0
	v_add_f64_e32 v[58:59], v[68:69], v[58:59]
	v_mul_f64_e32 v[68:69], s[20:21], v[110:111]
	s_delay_alu instid0(VALU_DEP_1) | instskip(SKIP_1) | instid1(VALU_DEP_2)
	v_add_f64_e32 v[68:69], v[70:71], v[68:69]
	v_mul_f64_e32 v[70:71], s[10:11], v[173:174]
	v_add_f64_e32 v[68:69], v[68:69], v[72:73]
	s_delay_alu instid0(VALU_DEP_2) | instskip(SKIP_1) | instid1(VALU_DEP_3)
	v_add_f64_e64 v[70:71], v[70:71], -v[76:77]
	v_mul_f64_e32 v[76:77], s[6:7], v[145:146]
	v_add_f64_e32 v[58:59], v[58:59], v[68:69]
	s_delay_alu instid0(VALU_DEP_2) | instskip(SKIP_1) | instid1(VALU_DEP_3)
	v_add_f64_e64 v[76:77], v[76:77], -v[78:79]
	v_mul_f64_e32 v[78:79], s[20:21], v[108:109]
	v_add_f64_e32 v[56:57], v[56:57], v[58:59]
	s_delay_alu instid0(VALU_DEP_2) | instskip(SKIP_1) | instid1(VALU_DEP_2)
	v_add_f64_e64 v[78:79], v[78:79], -v[80:81]
	v_mul_f64_e32 v[80:81], s[22:23], v[203:204]
	v_add_f64_e32 v[72:73], v[78:79], v[74:75]
	s_delay_alu instid0(VALU_DEP_2)
	v_add_f64_e32 v[80:81], v[235:236], v[80:81]
	v_mul_f64_e32 v[74:75], s[14:15], v[229:230]
	scratch_load_b64 v[78:79], off, off offset:240 th:TH_LOAD_LU ; 8-byte Folded Reload
	v_add_f64_e32 v[68:69], v[76:77], v[72:73]
	v_mul_f64_e32 v[72:73], s[0:1], v[120:121]
	v_add_f64_e32 v[56:57], v[80:81], v[56:57]
	v_add_f64_e64 v[74:75], v[74:75], -v[122:123]
	s_clause 0x1
	scratch_load_b64 v[76:77], off, off offset:136 th:TH_LOAD_LU
	scratch_load_b64 v[80:81], off, off offset:336 th:TH_LOAD_LU
	v_add_f64_e32 v[58:59], v[70:71], v[68:69]
	v_add_f64_e32 v[72:73], v[157:158], v[72:73]
	v_mul_f64_e32 v[68:69], s[0:1], v[118:119]
	v_mul_f64_e32 v[70:71], s[18:19], v[153:154]
	v_add_f64_e32 v[56:57], v[84:85], v[56:57]
	v_mul_f64_e32 v[84:85], s[18:19], v[231:232]
	v_add_f64_e32 v[58:59], v[82:83], v[58:59]
	v_mul_f64_e32 v[82:83], s[16:17], v[201:202]
	v_add_f64_e64 v[68:69], v[68:69], -v[155:156]
	v_add_f64_e32 v[70:71], v[197:198], v[70:71]
	v_add_f64_e32 v[56:57], v[72:73], v[56:57]
	scratch_load_b64 v[72:73], off, off offset:248 th:TH_LOAD_LU ; 8-byte Folded Reload
	v_add_f64_e32 v[84:85], v[116:117], v[84:85]
	v_add_f64_e32 v[58:59], v[74:75], v[58:59]
	v_mul_f64_e32 v[74:75], s[18:19], v[151:152]
	v_add_f64_e64 v[82:83], v[82:83], -v[223:224]
	s_delay_alu instid0(VALU_DEP_3) | instskip(SKIP_3) | instid1(VALU_DEP_1)
	v_add_f64_e32 v[68:69], v[68:69], v[58:59]
	v_add_f64_e32 v[58:59], v[70:71], v[56:57]
	scratch_load_b64 v[70:71], off, off offset:344 th:TH_LOAD_LU ; 8-byte Folded Reload
	v_add_f64_e64 v[74:75], v[74:75], -v[195:196]
	v_add_f64_e32 v[56:57], v[74:75], v[68:69]
	scratch_load_b64 v[74:75], off, off offset:144 th:TH_LOAD_LU ; 8-byte Folded Reload
	v_mul_f64_e32 v[68:69], s[14:15], v[177:178]
	s_wait_loadcnt 0x1
	s_delay_alu instid0(VALU_DEP_1) | instskip(SKIP_1) | instid1(VALU_DEP_1)
	v_add_f64_e32 v[68:69], v[70:71], v[68:69]
	v_mul_f64_e32 v[70:71], s[10:11], v[149:150]
	v_add_f64_e32 v[70:71], v[72:73], v[70:71]
	v_mul_f64_e32 v[72:73], s[6:7], v[110:111]
	s_wait_loadcnt 0x0
	s_delay_alu instid0(VALU_DEP_1) | instskip(SKIP_1) | instid1(VALU_DEP_2)
	v_add_f64_e32 v[72:73], v[74:75], v[72:73]
	v_mul_f64_e32 v[74:75], s[6:7], v[108:109]
	v_add_f64_e32 v[64:65], v[72:73], v[64:65]
	s_delay_alu instid0(VALU_DEP_2) | instskip(SKIP_2) | instid1(VALU_DEP_4)
	v_add_f64_e64 v[74:75], v[74:75], -v[76:77]
	v_mul_f64_e32 v[76:77], s[10:11], v[145:146]
	v_mul_f64_e32 v[72:73], s[18:19], v[229:230]
	v_add_f64_e32 v[64:65], v[70:71], v[64:65]
	s_delay_alu instid0(VALU_DEP_4) | instskip(NEXT) | instid1(VALU_DEP_4)
	v_add_f64_e32 v[66:67], v[74:75], v[66:67]
	v_add_f64_e64 v[76:77], v[76:77], -v[78:79]
	v_mul_f64_e32 v[78:79], s[14:15], v[173:174]
	v_add_f64_e64 v[72:73], v[72:73], -v[251:252]
	v_mul_f64_e32 v[70:71], s[20:21], v[120:121]
	v_mul_f64_e32 v[74:75], s[22:23], v[153:154]
	v_add_f64_e32 v[64:65], v[68:69], v[64:65]
	v_mul_f64_e32 v[68:69], s[20:21], v[118:119]
	v_add_f64_e32 v[66:67], v[76:77], v[66:67]
	v_add_f64_e64 v[78:79], v[78:79], -v[80:81]
	v_mul_f64_e32 v[80:81], s[16:17], v[203:204]
	v_add_f64_e32 v[70:71], v[147:148], v[70:71]
	v_add_f64_e32 v[74:75], v[175:176], v[74:75]
	v_add_f64_e64 v[68:69], v[68:69], -v[141:142]
	v_add_f64_e32 v[66:67], v[78:79], v[66:67]
	v_add_f64_e32 v[80:81], v[225:226], v[80:81]
	s_delay_alu instid0(VALU_DEP_2) | instskip(NEXT) | instid1(VALU_DEP_2)
	v_add_f64_e32 v[66:67], v[82:83], v[66:67]
	v_add_f64_e32 v[64:65], v[80:81], v[64:65]
	s_delay_alu instid0(VALU_DEP_2) | instskip(NEXT) | instid1(VALU_DEP_2)
	v_add_f64_e32 v[66:67], v[72:73], v[66:67]
	v_add_f64_e32 v[64:65], v[84:85], v[64:65]
	v_mul_f64_e32 v[72:73], s[22:23], v[151:152]
	s_delay_alu instid0(VALU_DEP_3) | instskip(NEXT) | instid1(VALU_DEP_3)
	v_add_f64_e32 v[68:69], v[68:69], v[66:67]
	v_add_f64_e32 v[64:65], v[70:71], v[64:65]
	s_delay_alu instid0(VALU_DEP_3) | instskip(NEXT) | instid1(VALU_DEP_2)
	v_add_f64_e64 v[72:73], v[72:73], -v[171:172]
	v_add_f64_e32 v[66:67], v[74:75], v[64:65]
	s_delay_alu instid0(VALU_DEP_2) | instskip(SKIP_1) | instid1(VALU_DEP_1)
	v_add_f64_e32 v[64:65], v[72:73], v[68:69]
	v_and_b32_e32 v68, 0xffff, v199
	v_lshlrev_b32_e32 v68, 4, v68
	ds_store_b128 v68, v[44:47] offset:32
	ds_store_b128 v68, v[48:51] offset:48
	;; [unrolled: 1-line block ×6, first 2 shown]
	ds_store_b128 v68, v[40:43]
	ds_store_b128 v68, v[32:35] offset:128
	ds_store_b128 v68, v[60:63] offset:144
	;; [unrolled: 1-line block ×10, first 2 shown]
.LBB0_7:
	s_wait_alu 0xfffe
	s_or_b32 exec_lo, exec_lo, s24
	v_and_b32_e32 v36, 0xff, v136
	s_load_b128 s[0:3], s[2:3], 0x0
	global_wb scope:SCOPE_SE
	s_wait_dscnt 0x0
	s_wait_kmcnt 0x0
	s_barrier_signal -1
	s_barrier_wait -1
	v_mul_lo_u16 v36, 0xf1, v36
	global_inv scope:SCOPE_SE
	s_mov_b32 s10, 0x37e14327
	s_mov_b32 s14, 0xe976ee23
	;; [unrolled: 1-line block ×3, first 2 shown]
	v_lshrrev_b16 v36, 12, v36
	s_mov_b32 s15, 0xbfe11646
	s_mov_b32 s6, 0x429ad128
	;; [unrolled: 1-line block ×4, first 2 shown]
	v_mul_lo_u16 v37, v36, 17
	s_mov_b32 s17, 0x3fac98ee
	s_mov_b32 s18, 0xaaaaaaaa
	;; [unrolled: 1-line block ×4, first 2 shown]
	v_sub_nc_u16 v37, v136, v37
	s_mov_b32 s20, 0x5476071b
	s_mov_b32 s25, 0x3fd5d0dc
	;; [unrolled: 1-line block ×4, first 2 shown]
	v_and_b32_e32 v37, 0xff, v37
	s_mov_b32 s27, 0xbfd5d0dc
	s_wait_alu 0xfffe
	s_mov_b32 s22, s20
	s_mov_b32 s26, s24
	;; [unrolled: 1-line block ×3, first 2 shown]
	v_mul_u32_u24_e32 v38, 6, v37
	s_mov_b32 s29, 0x3fdc38aa
	v_and_b32_e32 v36, 0xffff, v36
	s_delay_alu instid0(VALU_DEP_2)
	v_lshlrev_b32_e32 v38, 4, v38
	s_clause 0x5
	global_load_b128 v[52:55], v38, s[4:5]
	global_load_b128 v[48:51], v38, s[4:5] offset:16
	global_load_b128 v[56:59], v38, s[4:5] offset:80
	;; [unrolled: 1-line block ×5, first 2 shown]
	ds_load_b128 v[64:67], v255 offset:1904
	ds_load_b128 v[68:71], v255 offset:3808
	;; [unrolled: 1-line block ×6, first 2 shown]
	v_mul_u32_u24_e32 v36, 0x77, v36
	s_delay_alu instid0(VALU_DEP_1)
	v_add_lshl_u32 v254, v36, v37, 4
	s_wait_loadcnt_dscnt 0x505
	v_mul_f64_e32 v[88:89], v[66:67], v[54:55]
	v_mul_f64_e32 v[90:91], v[64:65], v[54:55]
	s_wait_loadcnt_dscnt 0x404
	v_mul_f64_e32 v[92:93], v[70:71], v[50:51]
	v_mul_f64_e32 v[94:95], v[68:69], v[50:51]
	;; [unrolled: 3-line block ×6, first 2 shown]
	v_fma_f64 v[64:65], v[64:65], v[52:53], -v[88:89]
	v_fma_f64 v[66:67], v[66:67], v[52:53], v[90:91]
	v_fma_f64 v[68:69], v[68:69], v[48:49], -v[92:93]
	v_fma_f64 v[70:71], v[70:71], v[48:49], v[94:95]
	;; [unrolled: 2-line block ×6, first 2 shown]
	v_add_f64_e32 v[88:89], v[64:65], v[72:73]
	v_add_f64_e32 v[90:91], v[66:67], v[74:75]
	;; [unrolled: 1-line block ×4, first 2 shown]
	v_add_f64_e64 v[68:69], v[68:69], -v[76:77]
	v_add_f64_e64 v[70:71], v[70:71], -v[78:79]
	v_add_f64_e32 v[76:77], v[80:81], v[84:85]
	v_add_f64_e32 v[78:79], v[82:83], v[86:87]
	v_add_f64_e64 v[80:81], v[84:85], -v[80:81]
	v_add_f64_e64 v[82:83], v[86:87], -v[82:83]
	;; [unrolled: 1-line block ×4, first 2 shown]
	v_add_f64_e32 v[64:65], v[92:93], v[88:89]
	v_add_f64_e32 v[66:67], v[94:95], v[90:91]
	v_add_f64_e64 v[84:85], v[88:89], -v[76:77]
	v_add_f64_e64 v[86:87], v[90:91], -v[78:79]
	;; [unrolled: 1-line block ×6, first 2 shown]
	v_add_f64_e32 v[68:69], v[80:81], v[68:69]
	v_add_f64_e32 v[70:71], v[82:83], v[70:71]
	v_add_f64_e64 v[80:81], v[72:73], -v[80:81]
	v_add_f64_e64 v[82:83], v[74:75], -v[82:83]
	;; [unrolled: 1-line block ×4, first 2 shown]
	v_add_f64_e32 v[104:105], v[76:77], v[64:65]
	v_add_f64_e32 v[106:107], v[78:79], v[66:67]
	v_add_f64_e64 v[76:77], v[76:77], -v[92:93]
	v_add_f64_e64 v[78:79], v[78:79], -v[94:95]
	ds_load_b128 v[64:67], v255
	v_mul_f64_e32 v[84:85], s[10:11], v[84:85]
	v_mul_f64_e32 v[86:87], s[10:11], v[86:87]
	;; [unrolled: 1-line block ×6, first 2 shown]
	v_add_f64_e32 v[68:69], v[68:69], v[72:73]
	v_add_f64_e32 v[70:71], v[70:71], v[74:75]
	global_wb scope:SCOPE_SE
	s_wait_dscnt 0x0
	s_barrier_signal -1
	s_barrier_wait -1
	global_inv scope:SCOPE_SE
	v_add_f64_e32 v[64:65], v[64:65], v[104:105]
	v_add_f64_e32 v[66:67], v[66:67], v[106:107]
	v_mul_f64_e32 v[92:93], s[16:17], v[76:77]
	v_mul_f64_e32 v[94:95], s[16:17], v[78:79]
	v_fma_f64 v[72:73], v[76:77], s[16:17], v[84:85]
	v_fma_f64 v[74:75], v[78:79], s[16:17], v[86:87]
	;; [unrolled: 1-line block ×4, first 2 shown]
	v_fma_f64 v[96:97], v[100:101], s[6:7], -v[96:97]
	v_fma_f64 v[98:99], v[102:103], s[6:7], -v[98:99]
	s_wait_alu 0xfffe
	v_fma_f64 v[80:81], v[80:81], s[26:27], -v[108:109]
	v_fma_f64 v[82:83], v[82:83], s[26:27], -v[110:111]
	;; [unrolled: 1-line block ×4, first 2 shown]
	v_fma_f64 v[100:101], v[104:105], s[18:19], v[64:65]
	v_fma_f64 v[102:103], v[106:107], s[18:19], v[66:67]
	v_fma_f64 v[88:89], v[88:89], s[20:21], -v[92:93]
	v_fma_f64 v[90:91], v[90:91], s[20:21], -v[94:95]
	v_fma_f64 v[92:93], v[68:69], s[28:29], v[76:77]
	v_fma_f64 v[94:95], v[70:71], s[28:29], v[78:79]
	;; [unrolled: 1-line block ×6, first 2 shown]
	v_add_f64_e32 v[108:109], v[72:73], v[100:101]
	v_add_f64_e32 v[110:111], v[74:75], v[102:103]
	;; [unrolled: 1-line block ×7, first 2 shown]
	v_add_f64_e64 v[70:71], v[110:111], -v[92:93]
	v_add_f64_e32 v[72:73], v[106:107], v[84:85]
	v_add_f64_e64 v[74:75], v[86:87], -v[104:105]
	v_add_f64_e64 v[76:77], v[80:81], -v[98:99]
	v_add_f64_e32 v[78:79], v[96:97], v[82:83]
	v_add_f64_e32 v[80:81], v[98:99], v[80:81]
	v_add_f64_e64 v[82:83], v[82:83], -v[96:97]
	v_add_f64_e64 v[84:85], v[84:85], -v[106:107]
	v_add_f64_e32 v[86:87], v[104:105], v[86:87]
	v_add_f64_e64 v[88:89], v[108:109], -v[94:95]
	v_add_f64_e32 v[90:91], v[92:93], v[110:111]
	v_mad_co_u64_u32 v[92:93], null, 0x60, v136, s[4:5]
	ds_store_b128 v254, v[64:67]
	ds_store_b128 v254, v[68:71] offset:272
	ds_store_b128 v254, v[72:75] offset:544
	;; [unrolled: 1-line block ×6, first 2 shown]
	global_wb scope:SCOPE_SE
	s_wait_dscnt 0x0
	s_barrier_signal -1
	s_barrier_wait -1
	global_inv scope:SCOPE_SE
	s_clause 0x5
	global_load_b128 v[68:71], v[92:93], off offset:1632
	global_load_b128 v[64:67], v[92:93], off offset:1648
	global_load_b128 v[72:75], v[92:93], off offset:1712
	global_load_b128 v[238:241], v[92:93], off offset:1696
	global_load_b128 v[80:83], v[92:93], off offset:1664
	global_load_b128 v[76:79], v[92:93], off offset:1680
	ds_load_b128 v[88:91], v255 offset:1904
	ds_load_b128 v[92:95], v255 offset:3808
	;; [unrolled: 1-line block ×6, first 2 shown]
	s_wait_loadcnt_dscnt 0x505
	v_mul_f64_e32 v[112:113], v[90:91], v[70:71]
	v_mul_f64_e32 v[114:115], v[88:89], v[70:71]
	s_wait_loadcnt_dscnt 0x404
	v_mul_f64_e32 v[116:117], v[94:95], v[66:67]
	v_mul_f64_e32 v[118:119], v[92:93], v[66:67]
	;; [unrolled: 3-line block ×6, first 2 shown]
	v_fma_f64 v[88:89], v[88:89], v[68:69], -v[112:113]
	v_fma_f64 v[90:91], v[90:91], v[68:69], v[114:115]
	v_fma_f64 v[92:93], v[92:93], v[64:65], -v[116:117]
	v_fma_f64 v[94:95], v[94:95], v[64:65], v[118:119]
	;; [unrolled: 2-line block ×6, first 2 shown]
	v_add_f64_e32 v[112:113], v[88:89], v[96:97]
	v_add_f64_e32 v[114:115], v[90:91], v[98:99]
	;; [unrolled: 1-line block ×4, first 2 shown]
	v_add_f64_e64 v[92:93], v[92:93], -v[100:101]
	v_add_f64_e64 v[94:95], v[94:95], -v[102:103]
	v_add_f64_e32 v[100:101], v[104:105], v[108:109]
	v_add_f64_e32 v[102:103], v[106:107], v[110:111]
	v_add_f64_e64 v[104:105], v[108:109], -v[104:105]
	v_add_f64_e64 v[106:107], v[110:111], -v[106:107]
	;; [unrolled: 1-line block ×4, first 2 shown]
	v_add_f64_e32 v[88:89], v[116:117], v[112:113]
	v_add_f64_e32 v[90:91], v[118:119], v[114:115]
	v_add_f64_e64 v[108:109], v[112:113], -v[100:101]
	v_add_f64_e64 v[110:111], v[114:115], -v[102:103]
	;; [unrolled: 1-line block ×6, first 2 shown]
	v_add_f64_e32 v[92:93], v[104:105], v[92:93]
	v_add_f64_e32 v[94:95], v[106:107], v[94:95]
	v_add_f64_e64 v[104:105], v[96:97], -v[104:105]
	v_add_f64_e64 v[106:107], v[98:99], -v[106:107]
	;; [unrolled: 1-line block ×4, first 2 shown]
	v_add_f64_e32 v[128:129], v[100:101], v[88:89]
	v_add_f64_e32 v[130:131], v[102:103], v[90:91]
	v_add_f64_e64 v[100:101], v[100:101], -v[116:117]
	v_add_f64_e64 v[102:103], v[102:103], -v[118:119]
	ds_load_b128 v[88:91], v255
	v_mul_f64_e32 v[108:109], s[10:11], v[108:109]
	v_mul_f64_e32 v[110:111], s[10:11], v[110:111]
	v_mul_f64_e32 v[120:121], s[14:15], v[120:121]
	v_mul_f64_e32 v[122:123], s[14:15], v[122:123]
	v_mul_f64_e32 v[132:133], s[6:7], v[124:125]
	v_mul_f64_e32 v[134:135], s[6:7], v[126:127]
	v_add_f64_e32 v[92:93], v[92:93], v[96:97]
	v_add_f64_e32 v[94:95], v[94:95], v[98:99]
	s_wait_dscnt 0x0
	v_add_f64_e32 v[88:89], v[88:89], v[128:129]
	v_add_f64_e32 v[90:91], v[90:91], v[130:131]
	v_mul_f64_e32 v[116:117], s[16:17], v[100:101]
	v_mul_f64_e32 v[118:119], s[16:17], v[102:103]
	v_fma_f64 v[96:97], v[100:101], s[16:17], v[108:109]
	v_fma_f64 v[98:99], v[102:103], s[16:17], v[110:111]
	;; [unrolled: 1-line block ×4, first 2 shown]
	v_fma_f64 v[120:121], v[124:125], s[6:7], -v[120:121]
	v_fma_f64 v[122:123], v[126:127], s[6:7], -v[122:123]
	;; [unrolled: 1-line block ×6, first 2 shown]
	v_fma_f64 v[124:125], v[128:129], s[18:19], v[88:89]
	v_fma_f64 v[126:127], v[130:131], s[18:19], v[90:91]
	v_fma_f64 v[112:113], v[112:113], s[20:21], -v[116:117]
	v_fma_f64 v[114:115], v[114:115], s[20:21], -v[118:119]
	v_fma_f64 v[116:117], v[92:93], s[28:29], v[100:101]
	v_fma_f64 v[118:119], v[94:95], s[28:29], v[102:103]
	;; [unrolled: 1-line block ×6, first 2 shown]
	v_add_f64_e32 v[132:133], v[96:97], v[124:125]
	v_add_f64_e32 v[134:135], v[98:99], v[126:127]
	;; [unrolled: 1-line block ×7, first 2 shown]
	v_add_f64_e64 v[94:95], v[134:135], -v[116:117]
	v_add_f64_e32 v[96:97], v[130:131], v[108:109]
	v_add_f64_e64 v[98:99], v[110:111], -v[128:129]
	v_add_f64_e64 v[100:101], v[104:105], -v[122:123]
	v_add_f64_e32 v[102:103], v[120:121], v[106:107]
	v_add_f64_e32 v[104:105], v[122:123], v[104:105]
	v_add_f64_e64 v[106:107], v[106:107], -v[120:121]
	v_add_f64_e64 v[108:109], v[108:109], -v[130:131]
	v_add_f64_e32 v[110:111], v[128:129], v[110:111]
	v_add_f64_e64 v[112:113], v[132:133], -v[118:119]
	v_add_f64_e32 v[114:115], v[116:117], v[134:135]
	ds_store_b128 v255, v[88:91]
	ds_store_b128 v255, v[92:95] offset:1904
	ds_store_b128 v255, v[96:99] offset:3808
	;; [unrolled: 1-line block ×6, first 2 shown]
	global_wb scope:SCOPE_SE
	s_wait_dscnt 0x0
	s_barrier_signal -1
	s_barrier_wait -1
	global_inv scope:SCOPE_SE
	s_and_saveexec_b32 s6, vcc_lo
	s_cbranch_execz .LBB0_9
; %bb.8:
	global_load_b128 v[116:119], v255, s[8:9] offset:13328
	s_add_nc_u64 s[4:5], s[8:9], 0x3410
	s_clause 0x3
	global_load_b128 v[120:123], v255, s[4:5] offset:784
	global_load_b128 v[124:127], v255, s[4:5] offset:1568
	;; [unrolled: 1-line block ×4, first 2 shown]
	ds_load_b128 v[138:141], v255
	ds_load_b128 v[142:145], v255 offset:784
	ds_load_b128 v[146:149], v255 offset:12544
	s_wait_loadcnt_dscnt 0x301
	v_mul_f64_e32 v[154:155], v[144:145], v[122:123]
	v_mul_f64_e32 v[150:151], v[140:141], v[118:119]
	;; [unrolled: 1-line block ×4, first 2 shown]
	s_delay_alu instid0(VALU_DEP_4) | instskip(NEXT) | instid1(VALU_DEP_4)
	v_fma_f64 v[142:143], v[142:143], v[120:121], -v[154:155]
	v_fma_f64 v[138:139], v[138:139], v[116:117], -v[150:151]
	s_delay_alu instid0(VALU_DEP_4)
	v_fma_f64 v[140:141], v[140:141], v[116:117], v[118:119]
	ds_load_b128 v[116:119], v255 offset:1568
	ds_load_b128 v[150:153], v255 offset:2352
	v_fma_f64 v[144:145], v[144:145], v[120:121], v[122:123]
	s_wait_loadcnt_dscnt 0x201
	v_mul_f64_e32 v[120:121], v[118:119], v[126:127]
	v_mul_f64_e32 v[122:123], v[116:117], v[126:127]
	s_wait_loadcnt_dscnt 0x100
	v_mul_f64_e32 v[154:155], v[152:153], v[130:131]
	v_mul_f64_e32 v[130:131], v[150:151], v[130:131]
	s_delay_alu instid0(VALU_DEP_4) | instskip(NEXT) | instid1(VALU_DEP_4)
	v_fma_f64 v[116:117], v[116:117], v[124:125], -v[120:121]
	v_fma_f64 v[118:119], v[118:119], v[124:125], v[122:123]
	ds_load_b128 v[124:127], v255 offset:3136
	global_load_b128 v[120:123], v255, s[4:5] offset:3920
	v_fma_f64 v[150:151], v[150:151], v[128:129], -v[154:155]
	v_fma_f64 v[152:153], v[152:153], v[128:129], v[130:131]
	ds_load_b128 v[128:131], v255 offset:3920
	s_wait_loadcnt_dscnt 0x101
	v_mul_f64_e32 v[154:155], v[126:127], v[134:135]
	v_mul_f64_e32 v[134:135], v[124:125], v[134:135]
	s_delay_alu instid0(VALU_DEP_2) | instskip(NEXT) | instid1(VALU_DEP_2)
	v_fma_f64 v[124:125], v[124:125], v[132:133], -v[154:155]
	v_fma_f64 v[126:127], v[126:127], v[132:133], v[134:135]
	global_load_b128 v[132:135], v255, s[4:5] offset:4704
	s_wait_loadcnt_dscnt 0x100
	v_mul_f64_e32 v[154:155], v[130:131], v[122:123]
	v_mul_f64_e32 v[122:123], v[128:129], v[122:123]
	s_delay_alu instid0(VALU_DEP_2) | instskip(NEXT) | instid1(VALU_DEP_2)
	v_fma_f64 v[128:129], v[128:129], v[120:121], -v[154:155]
	v_fma_f64 v[130:131], v[130:131], v[120:121], v[122:123]
	ds_load_b128 v[120:123], v255 offset:4704
	ds_load_b128 v[154:157], v255 offset:5488
	s_wait_loadcnt_dscnt 0x1
	v_mul_f64_e32 v[158:159], v[122:123], v[134:135]
	v_mul_f64_e32 v[134:135], v[120:121], v[134:135]
	s_delay_alu instid0(VALU_DEP_2) | instskip(NEXT) | instid1(VALU_DEP_2)
	v_fma_f64 v[120:121], v[120:121], v[132:133], -v[158:159]
	v_fma_f64 v[122:123], v[122:123], v[132:133], v[134:135]
	s_clause 0x1
	global_load_b128 v[132:135], v255, s[4:5] offset:5488
	global_load_b128 v[158:161], v255, s[4:5] offset:6272
	s_wait_loadcnt_dscnt 0x100
	v_mul_f64_e32 v[162:163], v[156:157], v[134:135]
	v_mul_f64_e32 v[134:135], v[154:155], v[134:135]
	s_delay_alu instid0(VALU_DEP_2) | instskip(NEXT) | instid1(VALU_DEP_2)
	v_fma_f64 v[154:155], v[154:155], v[132:133], -v[162:163]
	v_fma_f64 v[156:157], v[156:157], v[132:133], v[134:135]
	ds_load_b128 v[132:135], v255 offset:6272
	ds_load_b128 v[162:165], v255 offset:7056
	s_wait_loadcnt_dscnt 0x1
	v_mul_f64_e32 v[166:167], v[134:135], v[160:161]
	v_mul_f64_e32 v[160:161], v[132:133], v[160:161]
	s_delay_alu instid0(VALU_DEP_2) | instskip(NEXT) | instid1(VALU_DEP_2)
	v_fma_f64 v[132:133], v[132:133], v[158:159], -v[166:167]
	v_fma_f64 v[134:135], v[134:135], v[158:159], v[160:161]
	s_clause 0x1
	global_load_b128 v[158:161], v255, s[4:5] offset:7056
	;; [unrolled: 17-line block ×4, first 2 shown]
	global_load_b128 v[186:189], v255, s[4:5] offset:10976
	ds_load_b128 v[190:193], v255 offset:10976
	ds_load_b128 v[194:197], v255 offset:11760
	s_wait_loadcnt_dscnt 0x102
	v_mul_f64_e32 v[158:159], v[184:185], v[180:181]
	v_mul_f64_e32 v[168:169], v[182:183], v[180:181]
	s_delay_alu instid0(VALU_DEP_2) | instskip(SKIP_2) | instid1(VALU_DEP_3)
	v_fma_f64 v[180:181], v[182:183], v[178:179], -v[158:159]
	s_wait_loadcnt_dscnt 0x1
	v_mul_f64_e32 v[158:159], v[192:193], v[188:189]
	v_fma_f64 v[182:183], v[184:185], v[178:179], v[168:169]
	v_mul_f64_e32 v[168:169], v[190:191], v[188:189]
	s_delay_alu instid0(VALU_DEP_3)
	v_fma_f64 v[184:185], v[190:191], v[186:187], -v[158:159]
	s_clause 0x1
	global_load_b128 v[188:191], v255, s[4:5] offset:11760
	global_load_b128 v[200:203], v255, s[4:5] offset:12544
	v_fma_f64 v[186:187], v[192:193], v[186:187], v[168:169]
	s_wait_loadcnt_dscnt 0x100
	v_mul_f64_e32 v[158:159], v[196:197], v[190:191]
	v_mul_f64_e32 v[168:169], v[194:195], v[190:191]
	s_delay_alu instid0(VALU_DEP_2) | instskip(NEXT) | instid1(VALU_DEP_2)
	v_fma_f64 v[190:191], v[194:195], v[188:189], -v[158:159]
	v_fma_f64 v[192:193], v[196:197], v[188:189], v[168:169]
	s_wait_loadcnt 0x0
	v_mul_f64_e32 v[158:159], v[148:149], v[202:203]
	v_mul_f64_e32 v[168:169], v[146:147], v[202:203]
	s_delay_alu instid0(VALU_DEP_2) | instskip(NEXT) | instid1(VALU_DEP_2)
	v_fma_f64 v[146:147], v[146:147], v[200:201], -v[158:159]
	v_fma_f64 v[148:149], v[148:149], v[200:201], v[168:169]
	ds_store_b128 v255, v[138:141]
	ds_store_b128 v255, v[142:145] offset:784
	ds_store_b128 v255, v[116:119] offset:1568
	;; [unrolled: 1-line block ×16, first 2 shown]
.LBB0_9:
	s_wait_alu 0xfffe
	s_or_b32 exec_lo, exec_lo, s6
	global_wb scope:SCOPE_SE
	s_wait_dscnt 0x0
	s_barrier_signal -1
	s_barrier_wait -1
	global_inv scope:SCOPE_SE
	s_and_saveexec_b32 s4, vcc_lo
	s_cbranch_execz .LBB0_11
; %bb.10:
	ds_load_b128 v[88:91], v255
	ds_load_b128 v[92:95], v255 offset:784
	ds_load_b128 v[96:99], v255 offset:1568
	;; [unrolled: 1-line block ×16, first 2 shown]
.LBB0_11:
	s_wait_alu 0xfffe
	s_or_b32 exec_lo, exec_lo, s4
	global_wb scope:SCOPE_SE
	s_wait_dscnt 0x0
	s_barrier_signal -1
	s_barrier_wait -1
	global_inv scope:SCOPE_SE
	s_and_saveexec_b32 s33, vcc_lo
	s_cbranch_execz .LBB0_13
; %bb.12:
	v_add_f64_e32 v[118:119], v[88:89], v[92:93]
	v_add_f64_e32 v[116:117], v[90:91], v[94:95]
	v_add_f64_e64 v[120:121], v[34:35], -v[62:63]
	v_add_f64_e64 v[126:127], v[96:97], -v[4:5]
	s_mov_b32 s24, 0x6c9a05f6
	s_mov_b32 s25, 0xbfe9895b
	s_mov_b32 s10, 0x6ed5f1bb
	s_mov_b32 s11, 0xbfe348c8
	s_mov_b32 s46, 0x923c349f
	s_mov_b32 s47, 0xbfeec746
	s_mov_b32 s14, 0xc61f0d01
	s_mov_b32 s15, 0xbfd183b1
	s_mov_b32 s26, 0xeb564b22
	s_mov_b32 s27, 0x3fefdd0d
	s_mov_b32 s43, 0xbfefdd0d
	s_wait_alu 0xfffe
	s_mov_b32 s42, s26
	s_mov_b32 s16, 0x3259b75e
	s_mov_b32 s17, 0x3fb79ee6
	s_mov_b32 s44, 0x7c9e640b
	s_mov_b32 s45, 0x3feca52d
	s_mov_b32 s37, 0xbfeca52d
	s_wait_alu 0xfffe
	s_mov_b32 s36, s44
	s_mov_b32 s18, 0x2b2883cd
	s_mov_b32 s19, 0x3fdc86fa
	s_mov_b32 s34, 0x2a9d6da3
	s_mov_b32 s35, 0x3fe58eea
	s_mov_b32 s49, 0xbfe58eea
	;; [unrolled: 7-line block ×3, first 2 shown]
	s_mov_b32 s31, 0xbfc7851a
	s_mov_b32 s39, 0xbfe0d888
	;; [unrolled: 1-line block ×4, first 2 shown]
	s_wait_alu 0xfffe
	s_mov_b32 s28, s40
	v_add_f64_e32 v[118:119], v[118:119], v[96:97]
	v_add_f64_e32 v[116:117], v[116:117], v[98:99]
	;; [unrolled: 1-line block ×3, first 2 shown]
	s_mov_b32 s6, 0x910ea3b9
	s_mov_b32 s4, 0x7faef3
	;; [unrolled: 1-line block ×6, first 2 shown]
	v_dual_mov_b32 v87, v75 :: v_dual_mov_b32 v86, v74
	v_dual_mov_b32 v85, v73 :: v_dual_mov_b32 v84, v72
	;; [unrolled: 1-line block ×4, first 2 shown]
	v_mul_f64_e32 v[204:205], s[26:27], v[120:121]
	s_mov_b32 s51, 0x3fe9895b
	s_mov_b32 s50, s24
	;; [unrolled: 1-line block ×4, first 2 shown]
	v_dual_mov_b32 v36, v208 :: v_dual_mov_b32 v37, v209
	v_dual_mov_b32 v38, v210 :: v_dual_mov_b32 v39, v211
	v_mul_f64_e32 v[208:209], s[44:45], v[120:121]
	v_mul_f64_e32 v[182:183], s[30:31], v[120:121]
	;; [unrolled: 1-line block ×3, first 2 shown]
	s_clause 0x1
	scratch_store_b32 off, v136, off offset:8
	scratch_store_b32 off, v199, off offset:272
	v_add_f64_e32 v[118:119], v[118:119], v[100:101]
	v_add_f64_e32 v[116:117], v[116:117], v[102:103]
	s_delay_alu instid0(VALU_DEP_2) | instskip(NEXT) | instid1(VALU_DEP_2)
	v_add_f64_e32 v[118:119], v[118:119], v[104:105]
	v_add_f64_e32 v[116:117], v[116:117], v[106:107]
	s_delay_alu instid0(VALU_DEP_2) | instskip(NEXT) | instid1(VALU_DEP_2)
	;; [unrolled: 3-line block ×5, first 2 shown]
	v_add_f64_e32 v[124:125], v[118:119], v[32:33]
	v_add_f64_e32 v[122:123], v[116:117], v[34:35]
	;; [unrolled: 1-line block ×4, first 2 shown]
	v_add_f64_e64 v[118:119], v[32:33], -v[60:61]
	v_add_f64_e32 v[32:33], v[32:33], v[60:61]
	v_add_f64_e32 v[124:125], v[124:125], v[60:61]
	;; [unrolled: 1-line block ×3, first 2 shown]
	v_add_f64_e64 v[62:63], v[26:27], -v[30:31]
	v_add_f64_e64 v[60:61], v[24:25], -v[28:29]
	v_add_f64_e32 v[24:25], v[24:25], v[28:29]
	v_add_f64_e32 v[26:27], v[112:113], v[20:21]
	v_mul_f64_e32 v[202:203], s[26:27], v[118:119]
	v_mul_f64_e32 v[206:207], s[44:45], v[118:119]
	;; [unrolled: 1-line block ×4, first 2 shown]
	v_add_f64_e32 v[124:125], v[124:125], v[28:29]
	v_add_f64_e32 v[30:31], v[122:123], v[30:31]
	v_add_f64_e64 v[122:123], v[112:113], -v[20:21]
	v_add_f64_e32 v[28:29], v[114:115], v[22:23]
	v_add_f64_e64 v[112:113], v[114:115], -v[22:23]
	v_add_f64_e64 v[114:115], v[108:109], -v[16:17]
	v_mul_f64_e32 v[136:137], s[44:45], v[60:61]
	v_mul_f64_e32 v[224:225], s[42:43], v[62:63]
	s_wait_alu 0xfffe
	v_mul_f64_e32 v[44:45], s[50:51], v[60:61]
	v_add_f64_e32 v[124:125], v[124:125], v[20:21]
	v_add_f64_e32 v[30:31], v[30:31], v[22:23]
	;; [unrolled: 1-line block ×4, first 2 shown]
	v_add_f64_e64 v[108:109], v[110:111], -v[18:19]
	v_add_f64_e64 v[110:111], v[104:105], -v[12:13]
	v_mul_f64_e32 v[198:199], s[52:53], v[122:123]
	v_mul_f64_e32 v[222:223], s[28:29], v[112:113]
	;; [unrolled: 1-line block ×4, first 2 shown]
	v_fma_f64 v[46:47], v[34:35], s[10:11], -v[44:45]
	v_fma_f64 v[44:45], v[34:35], s[10:11], v[44:45]
	v_add_f64_e32 v[124:125], v[124:125], v[16:17]
	v_add_f64_e32 v[30:31], v[30:31], v[18:19]
	;; [unrolled: 1-line block ×4, first 2 shown]
	v_add_f64_e64 v[106:107], v[106:107], -v[14:15]
	v_add_f64_e32 v[104:105], v[102:103], v[10:11]
	v_mul_f64_e32 v[246:247], s[30:31], v[110:111]
	v_mul_f64_e32 v[220:221], s[34:35], v[108:109]
	;; [unrolled: 1-line block ×4, first 2 shown]
	v_fma_f64 v[42:43], v[28:29], s[6:7], -v[40:41]
	v_fma_f64 v[40:41], v[28:29], s[6:7], v[40:41]
	v_add_f64_e32 v[12:13], v[124:125], v[12:13]
	v_add_f64_e32 v[14:15], v[30:31], v[14:15]
	v_add_f64_e64 v[124:125], v[100:101], -v[8:9]
	v_add_f64_e32 v[30:31], v[100:101], v[8:9]
	v_add_f64_e64 v[100:101], v[102:103], -v[10:11]
	v_add_f64_e64 v[102:103], v[98:99], -v[6:7]
	v_add_f64_e32 v[98:99], v[98:99], v[6:7]
	v_mul_f64_e32 v[248:249], s[30:31], v[106:107]
	v_mul_f64_e32 v[218:219], s[52:53], v[106:107]
	;; [unrolled: 1-line block ×3, first 2 shown]
	v_add_f64_e32 v[8:9], v[12:13], v[8:9]
	v_add_f64_e32 v[10:11], v[14:15], v[10:11]
	;; [unrolled: 1-line block ×4, first 2 shown]
	v_mul_f64_e32 v[242:243], s[24:25], v[124:125]
	v_mul_f64_e32 v[244:245], s[24:25], v[100:101]
	;; [unrolled: 1-line block ×5, first 2 shown]
	v_add_f64_e32 v[4:5], v[8:9], v[4:5]
	v_add_f64_e64 v[8:9], v[92:93], -v[0:1]
	v_add_f64_e32 v[6:7], v[10:11], v[6:7]
	v_add_f64_e64 v[10:11], v[94:95], -v[2:3]
	s_delay_alu instid0(VALU_DEP_4) | instskip(NEXT) | instid1(VALU_DEP_4)
	v_add_f64_e32 v[0:1], v[4:5], v[0:1]
	v_mul_f64_e32 v[92:93], s[24:25], v[8:9]
	s_delay_alu instid0(VALU_DEP_4) | instskip(NEXT) | instid1(VALU_DEP_4)
	v_add_f64_e32 v[2:3], v[6:7], v[2:3]
	v_mul_f64_e32 v[154:155], s[24:25], v[10:11]
	v_mul_f64_e32 v[94:95], s[46:47], v[8:9]
	v_mul_f64_e32 v[156:157], s[46:47], v[10:11]
	v_mul_f64_e32 v[128:129], s[42:43], v[8:9]
	v_mul_f64_e32 v[158:159], s[42:43], v[10:11]
	v_mul_f64_e32 v[130:131], s[36:37], v[8:9]
	v_mul_f64_e32 v[160:161], s[36:37], v[10:11]
	v_mul_f64_e32 v[132:133], s[48:49], v[8:9]
	v_mul_f64_e32 v[162:163], s[48:49], v[10:11]
	v_mul_f64_e32 v[4:5], s[30:31], v[8:9]
	v_mul_f64_e32 v[6:7], s[38:39], v[8:9]
	v_mul_f64_e32 v[8:9], s[28:29], v[8:9]
	v_mul_f64_e32 v[152:153], s[38:39], v[10:11]
	v_fma_f64 v[140:141], v[12:13], s[10:11], v[92:93]
	v_fma_f64 v[92:93], v[12:13], s[10:11], -v[92:93]
	scratch_store_b128 off, v[0:3], off offset:16 ; 16-byte Folded Spill
	v_fma_f64 v[168:169], v[14:15], s[10:11], -v[154:155]
	v_fma_f64 v[154:155], v[14:15], s[10:11], v[154:155]
	v_fma_f64 v[142:143], v[12:13], s[14:15], v[94:95]
	v_fma_f64 v[170:171], v[14:15], s[14:15], -v[156:157]
	v_fma_f64 v[144:145], v[12:13], s[16:17], v[128:129]
	v_fma_f64 v[172:173], v[14:15], s[16:17], -v[158:159]
	v_fma_f64 v[146:147], v[12:13], s[18:19], -v[130:131]
	v_fma_f64 v[130:131], v[12:13], s[18:19], v[130:131]
	v_fma_f64 v[174:175], v[14:15], s[18:19], v[160:161]
	v_fma_f64 v[160:161], v[14:15], s[18:19], -v[160:161]
	v_fma_f64 v[148:149], v[12:13], s[20:21], -v[132:133]
	v_fma_f64 v[132:133], v[12:13], s[20:21], v[132:133]
	v_fma_f64 v[176:177], v[14:15], s[20:21], v[162:163]
	v_fma_f64 v[162:163], v[14:15], s[20:21], -v[162:163]
	v_fma_f64 v[134:135], v[12:13], s[4:5], v[4:5]
	v_fma_f64 v[4:5], v[12:13], s[4:5], -v[4:5]
	;; [unrolled: 2-line block ×3, first 2 shown]
	v_fma_f64 v[94:95], v[12:13], s[14:15], -v[94:95]
	v_fma_f64 v[128:129], v[12:13], s[16:17], -v[128:129]
	;; [unrolled: 1-line block ×3, first 2 shown]
	v_fma_f64 v[8:9], v[12:13], s[22:23], v[8:9]
	v_mul_f64_e32 v[12:13], s[30:31], v[10:11]
	v_mul_f64_e32 v[10:11], s[28:29], v[10:11]
	v_fma_f64 v[166:167], v[14:15], s[6:7], -v[152:153]
	v_fma_f64 v[152:153], v[14:15], s[6:7], v[152:153]
	v_fma_f64 v[156:157], v[14:15], s[14:15], v[156:157]
	v_fma_f64 v[158:159], v[14:15], s[16:17], v[158:159]
	v_add_f64_e32 v[140:141], v[90:91], v[140:141]
	v_add_f64_e32 v[0:1], v[90:91], v[92:93]
	;; [unrolled: 1-line block ×9, first 2 shown]
	v_fma_f64 v[164:165], v[14:15], s[4:5], -v[12:13]
	v_fma_f64 v[12:13], v[14:15], s[4:5], v[12:13]
	v_fma_f64 v[178:179], v[14:15], s[22:23], v[10:11]
	v_fma_f64 v[10:11], v[14:15], s[22:23], -v[10:11]
	v_add_f64_e32 v[14:15], v[90:91], v[134:135]
	v_add_f64_e32 v[166:167], v[88:89], v[166:167]
	;; [unrolled: 1-line block ×4, first 2 shown]
	v_mul_f64_e32 v[158:159], s[28:29], v[122:123]
	scratch_store_b64 off, v[0:1], off offset:184 ; 8-byte Folded Spill
	v_add_f64_e32 v[0:1], v[88:89], v[154:155]
	v_add_f64_e32 v[154:155], v[88:89], v[156:157]
	v_add_f64_e32 v[134:135], v[88:89], v[164:165]
	v_add_f64_e32 v[164:165], v[90:91], v[4:5]
	v_add_f64_e32 v[12:13], v[88:89], v[12:13]
	scratch_store_b64 off, v[0:1], off offset:176 ; 8-byte Folded Spill
	v_add_f64_e32 v[0:1], v[90:91], v[142:143]
	v_add_f64_e32 v[142:143], v[90:91], v[148:149]
	;; [unrolled: 1-line block ×3, first 2 shown]
	scratch_store_b64 off, v[0:1], off offset:168 ; 8-byte Folded Spill
	v_add_f64_e32 v[0:1], v[88:89], v[170:171]
	v_mul_f64_e32 v[170:171], s[24:25], v[112:113]
	scratch_store_b64 off, v[0:1], off offset:160 ; 8-byte Folded Spill
	v_add_f64_e32 v[0:1], v[90:91], v[144:145]
	v_add_f64_e32 v[144:145], v[90:91], v[150:151]
	;; [unrolled: 1-line block ×3, first 2 shown]
	v_mul_f64_e32 v[176:177], s[24:25], v[122:123]
	scratch_store_b64 off, v[0:1], off offset:136 ; 8-byte Folded Spill
	v_add_f64_e32 v[0:1], v[88:89], v[172:173]
	v_mul_f64_e32 v[172:173], s[42:43], v[60:61]
	scratch_store_b64 off, v[0:1], off offset:128 ; 8-byte Folded Spill
	v_add_f64_e32 v[0:1], v[90:91], v[130:131]
	scratch_store_b64 off, v[0:1], off offset:120 ; 8-byte Folded Spill
	v_add_f64_e32 v[0:1], v[88:89], v[160:161]
	v_mul_f64_e32 v[160:161], s[34:35], v[114:115]
	scratch_store_b64 off, v[0:1], off offset:112 ; 8-byte Folded Spill
	v_add_f64_e32 v[0:1], v[90:91], v[132:133]
	scratch_store_b64 off, v[0:1], off offset:88 ; 8-byte Folded Spill
	v_add_f64_e32 v[0:1], v[88:89], v[162:163]
	;; [unrolled: 2-line block ×3, first 2 shown]
	v_mul_f64_e32 v[8:9], s[40:41], v[126:127]
	scratch_store_b64 off, v[0:1], off offset:72 ; 8-byte Folded Spill
	v_fma_f64 v[4:5], v[98:99], s[22:23], v[8:9]
	v_add_f64_e32 v[0:1], v[88:89], v[10:11]
	v_mul_f64_e32 v[10:11], s[40:41], v[102:103]
	v_fma_f64 v[8:9], v[98:99], s[22:23], -v[8:9]
	v_mul_f64_e32 v[88:89], s[30:31], v[118:119]
	v_add_f64_e32 v[4:5], v[4:5], v[14:15]
	v_mul_f64_e32 v[14:15], s[38:39], v[124:125]
	v_fma_f64 v[6:7], v[96:97], s[22:23], -v[10:11]
	v_fma_f64 v[10:11], v[96:97], s[22:23], v[10:11]
	v_add_f64_e32 v[8:9], v[8:9], v[164:165]
	scratch_store_b64 off, v[0:1], off offset:64 ; 8-byte Folded Spill
	v_fma_f64 v[128:129], v[104:105], s[6:7], v[14:15]
	v_add_f64_e32 v[6:7], v[6:7], v[134:135]
	v_add_f64_e32 v[10:11], v[10:11], v[12:13]
	v_fma_f64 v[12:13], v[104:105], s[6:7], -v[14:15]
	v_fma_f64 v[14:15], v[32:33], s[16:17], v[204:205]
	v_add_f64_e32 v[4:5], v[128:129], v[4:5]
	v_mul_f64_e32 v[128:129], s[38:39], v[100:101]
	s_delay_alu instid0(VALU_DEP_4) | instskip(NEXT) | instid1(VALU_DEP_2)
	v_add_f64_e32 v[8:9], v[12:13], v[8:9]
	v_fma_f64 v[130:131], v[30:31], s[6:7], -v[128:129]
	v_fma_f64 v[12:13], v[30:31], s[6:7], v[128:129]
	v_mul_f64_e32 v[128:129], s[44:45], v[126:127]
	s_delay_alu instid0(VALU_DEP_3) | instskip(SKIP_1) | instid1(VALU_DEP_4)
	v_add_f64_e32 v[6:7], v[130:131], v[6:7]
	v_mul_f64_e32 v[130:131], s[34:35], v[110:111]
	v_add_f64_e32 v[10:11], v[12:13], v[10:11]
	s_delay_alu instid0(VALU_DEP_2) | instskip(SKIP_2) | instid1(VALU_DEP_3)
	v_fma_f64 v[132:133], v[18:19], s[20:21], v[130:131]
	v_fma_f64 v[12:13], v[18:19], s[20:21], -v[130:131]
	v_mul_f64_e32 v[130:131], s[44:45], v[102:103]
	v_add_f64_e32 v[4:5], v[132:133], v[4:5]
	v_mul_f64_e32 v[132:133], s[34:35], v[106:107]
	s_delay_alu instid0(VALU_DEP_4) | instskip(NEXT) | instid1(VALU_DEP_2)
	v_add_f64_e32 v[8:9], v[12:13], v[8:9]
	v_fma_f64 v[134:135], v[16:17], s[20:21], -v[132:133]
	v_fma_f64 v[12:13], v[16:17], s[20:21], v[132:133]
	v_mul_f64_e32 v[132:133], s[42:43], v[124:125]
	s_delay_alu instid0(VALU_DEP_3) | instskip(SKIP_1) | instid1(VALU_DEP_4)
	v_add_f64_e32 v[6:7], v[134:135], v[6:7]
	v_mul_f64_e32 v[134:135], s[24:25], v[114:115]
	v_add_f64_e32 v[10:11], v[12:13], v[10:11]
	s_delay_alu instid0(VALU_DEP_2) | instskip(SKIP_3) | instid1(VALU_DEP_4)
	v_fma_f64 v[162:163], v[22:23], s[10:11], v[134:135]
	v_fma_f64 v[12:13], v[22:23], s[10:11], -v[134:135]
	v_fma_f64 v[134:135], v[104:105], s[16:17], v[132:133]
	v_fma_f64 v[132:133], v[104:105], s[16:17], -v[132:133]
	v_add_f64_e32 v[4:5], v[162:163], v[4:5]
	v_mul_f64_e32 v[162:163], s[24:25], v[108:109]
	v_add_f64_e32 v[8:9], v[12:13], v[8:9]
	s_delay_alu instid0(VALU_DEP_2) | instskip(SKIP_1) | instid1(VALU_DEP_2)
	v_fma_f64 v[178:179], v[20:21], s[10:11], -v[162:163]
	v_fma_f64 v[12:13], v[20:21], s[10:11], v[162:163]
	v_add_f64_e32 v[6:7], v[178:179], v[6:7]
	v_mul_f64_e32 v[178:179], s[44:45], v[122:123]
	s_delay_alu instid0(VALU_DEP_3) | instskip(NEXT) | instid1(VALU_DEP_2)
	v_add_f64_e32 v[10:11], v[12:13], v[10:11]
	v_fma_f64 v[192:193], v[28:29], s[18:19], v[178:179]
	v_fma_f64 v[12:13], v[28:29], s[18:19], -v[178:179]
	s_delay_alu instid0(VALU_DEP_2) | instskip(SKIP_1) | instid1(VALU_DEP_3)
	v_add_f64_e32 v[4:5], v[192:193], v[4:5]
	v_mul_f64_e32 v[192:193], s[44:45], v[112:113]
	v_add_f64_e32 v[8:9], v[12:13], v[8:9]
	s_delay_alu instid0(VALU_DEP_2) | instskip(SKIP_1) | instid1(VALU_DEP_2)
	v_fma_f64 v[194:195], v[26:27], s[18:19], -v[192:193]
	v_fma_f64 v[12:13], v[26:27], s[18:19], v[192:193]
	v_add_f64_e32 v[6:7], v[194:195], v[6:7]
	v_mul_f64_e32 v[194:195], s[46:47], v[60:61]
	s_delay_alu instid0(VALU_DEP_3) | instskip(NEXT) | instid1(VALU_DEP_2)
	v_add_f64_e32 v[10:11], v[12:13], v[10:11]
	v_fma_f64 v[196:197], v[34:35], s[14:15], v[194:195]
	v_fma_f64 v[12:13], v[34:35], s[14:15], -v[194:195]
	s_delay_alu instid0(VALU_DEP_2) | instskip(SKIP_1) | instid1(VALU_DEP_3)
	v_add_f64_e32 v[4:5], v[196:197], v[4:5]
	v_mul_f64_e32 v[196:197], s[46:47], v[62:63]
	v_add_f64_e32 v[8:9], v[12:13], v[8:9]
	s_delay_alu instid0(VALU_DEP_2) | instskip(SKIP_1) | instid1(VALU_DEP_2)
	v_fma_f64 v[200:201], v[24:25], s[14:15], -v[196:197]
	v_fma_f64 v[12:13], v[24:25], s[14:15], v[196:197]
	v_add_f64_e32 v[200:201], v[200:201], v[6:7]
	v_fma_f64 v[6:7], v[116:117], s[16:17], v[202:203]
	s_delay_alu instid0(VALU_DEP_3) | instskip(SKIP_2) | instid1(VALU_DEP_4)
	v_add_f64_e32 v[12:13], v[12:13], v[10:11]
	v_fma_f64 v[10:11], v[116:117], s[16:17], -v[202:203]
	v_mul_f64_e32 v[202:203], s[46:47], v[118:119]
	v_add_f64_e32 v[2:3], v[6:7], v[4:5]
	v_fma_f64 v[4:5], v[32:33], s[16:17], -v[204:205]
	v_mul_f64_e32 v[204:205], s[46:47], v[120:121]
	v_fma_f64 v[6:7], v[116:117], s[22:23], -v[210:211]
	s_delay_alu instid0(VALU_DEP_3)
	v_add_f64_e32 v[0:1], v[4:5], v[200:201]
	v_mul_f64_e32 v[4:5], s[42:43], v[126:127]
	scratch_store_b128 off, v[0:3], off offset:32 ; 16-byte Folded Spill
	v_add_f64_e32 v[0:1], v[14:15], v[12:13]
	v_fma_f64 v[12:13], v[98:99], s[18:19], v[128:129]
	v_fma_f64 v[14:15], v[96:97], s[18:19], -v[130:131]
	v_fma_f64 v[128:129], v[98:99], s[18:19], -v[128:129]
	v_fma_f64 v[130:131], v[96:97], s[18:19], v[130:131]
	v_add_f64_e32 v[2:3], v[10:11], v[8:9]
	v_mul_f64_e32 v[8:9], s[44:45], v[62:63]
	s_mov_b32 s45, 0x3fc7851a
	s_mov_b32 s44, s30
	v_fma_f64 v[10:11], v[98:99], s[10:11], -v[184:185]
	s_wait_alu 0xfffe
	v_mul_f64_e32 v[216:217], s[44:45], v[100:101]
	v_add_f64_e32 v[12:13], v[12:13], v[138:139]
	v_add_f64_e32 v[14:15], v[14:15], v[166:167]
	;; [unrolled: 1-line block ×4, first 2 shown]
	scratch_store_b128 off, v[0:3], off offset:48 ; 16-byte Folded Spill
	v_mul_f64_e32 v[180:181], s[38:39], v[106:107]
	v_add_f64_e32 v[10:11], v[10:11], v[146:147]
	v_fma_f64 v[90:91], v[30:31], s[4:5], v[216:217]
	v_add_f64_e32 v[12:13], v[134:135], v[12:13]
	v_mul_f64_e32 v[134:135], s[42:43], v[100:101]
	v_add_f64_e32 v[128:129], v[132:133], v[128:129]
	s_delay_alu instid0(VALU_DEP_2) | instskip(SKIP_2) | instid1(VALU_DEP_3)
	v_fma_f64 v[138:139], v[30:31], s[16:17], -v[134:135]
	v_fma_f64 v[132:133], v[30:31], s[16:17], v[134:135]
	v_fma_f64 v[134:135], v[32:33], s[14:15], v[204:205]
	v_add_f64_e32 v[14:15], v[138:139], v[14:15]
	v_mul_f64_e32 v[138:139], s[50:51], v[110:111]
	s_delay_alu instid0(VALU_DEP_4) | instskip(NEXT) | instid1(VALU_DEP_2)
	v_add_f64_e32 v[130:131], v[132:133], v[130:131]
	v_fma_f64 v[162:163], v[18:19], s[10:11], v[138:139]
	v_fma_f64 v[132:133], v[18:19], s[10:11], -v[138:139]
	s_delay_alu instid0(VALU_DEP_2) | instskip(SKIP_1) | instid1(VALU_DEP_3)
	v_add_f64_e32 v[12:13], v[162:163], v[12:13]
	v_mul_f64_e32 v[162:163], s[50:51], v[106:107]
	v_add_f64_e32 v[128:129], v[132:133], v[128:129]
	s_delay_alu instid0(VALU_DEP_2) | instskip(SKIP_2) | instid1(VALU_DEP_3)
	v_fma_f64 v[164:165], v[16:17], s[10:11], -v[162:163]
	v_fma_f64 v[132:133], v[16:17], s[10:11], v[162:163]
	v_mul_f64_e32 v[162:163], s[52:53], v[126:127]
	v_add_f64_e32 v[14:15], v[164:165], v[14:15]
	v_mul_f64_e32 v[164:165], s[28:29], v[114:115]
	s_delay_alu instid0(VALU_DEP_4) | instskip(NEXT) | instid1(VALU_DEP_2)
	v_add_f64_e32 v[130:131], v[132:133], v[130:131]
	v_fma_f64 v[166:167], v[22:23], s[22:23], v[164:165]
	v_fma_f64 v[132:133], v[22:23], s[22:23], -v[164:165]
	v_mul_f64_e32 v[164:165], s[52:53], v[102:103]
	s_delay_alu instid0(VALU_DEP_3) | instskip(SKIP_1) | instid1(VALU_DEP_4)
	v_add_f64_e32 v[12:13], v[166:167], v[12:13]
	v_mul_f64_e32 v[166:167], s[28:29], v[108:109]
	v_add_f64_e32 v[128:129], v[132:133], v[128:129]
	s_delay_alu instid0(VALU_DEP_2) | instskip(SKIP_2) | instid1(VALU_DEP_3)
	v_fma_f64 v[178:179], v[20:21], s[22:23], -v[166:167]
	v_fma_f64 v[132:133], v[20:21], s[22:23], v[166:167]
	v_mul_f64_e32 v[166:167], s[28:29], v[124:125]
	v_add_f64_e32 v[14:15], v[178:179], v[14:15]
	v_mul_f64_e32 v[178:179], s[30:31], v[122:123]
	s_delay_alu instid0(VALU_DEP_4) | instskip(NEXT) | instid1(VALU_DEP_4)
	v_add_f64_e32 v[130:131], v[132:133], v[130:131]
	v_fma_f64 v[138:139], v[104:105], s[22:23], v[166:167]
	s_delay_alu instid0(VALU_DEP_3) | instskip(SKIP_2) | instid1(VALU_DEP_3)
	v_fma_f64 v[192:193], v[28:29], s[4:5], v[178:179]
	v_fma_f64 v[132:133], v[28:29], s[4:5], -v[178:179]
	v_mul_f64_e32 v[178:179], s[38:39], v[110:111]
	v_add_f64_e32 v[12:13], v[192:193], v[12:13]
	v_mul_f64_e32 v[192:193], s[30:31], v[112:113]
	s_delay_alu instid0(VALU_DEP_4) | instskip(NEXT) | instid1(VALU_DEP_2)
	v_add_f64_e32 v[128:129], v[132:133], v[128:129]
	v_fma_f64 v[194:195], v[26:27], s[4:5], -v[192:193]
	v_fma_f64 v[132:133], v[26:27], s[4:5], v[192:193]
	v_mul_f64_e32 v[192:193], s[26:27], v[114:115]
	s_delay_alu instid0(VALU_DEP_3) | instskip(SKIP_1) | instid1(VALU_DEP_4)
	v_add_f64_e32 v[14:15], v[194:195], v[14:15]
	v_mul_f64_e32 v[194:195], s[34:35], v[60:61]
	v_add_f64_e32 v[130:131], v[132:133], v[130:131]
	s_delay_alu instid0(VALU_DEP_2) | instskip(SKIP_2) | instid1(VALU_DEP_3)
	v_fma_f64 v[196:197], v[34:35], s[20:21], v[194:195]
	v_fma_f64 v[132:133], v[34:35], s[20:21], -v[194:195]
	v_mul_f64_e32 v[194:195], s[26:27], v[108:109]
	v_add_f64_e32 v[12:13], v[196:197], v[12:13]
	v_mul_f64_e32 v[196:197], s[34:35], v[62:63]
	s_delay_alu instid0(VALU_DEP_4) | instskip(NEXT) | instid1(VALU_DEP_2)
	v_add_f64_e32 v[128:129], v[132:133], v[128:129]
	v_fma_f64 v[200:201], v[24:25], s[20:21], -v[196:197]
	v_fma_f64 v[132:133], v[24:25], s[20:21], v[196:197]
	v_mul_f64_e32 v[196:197], s[48:49], v[122:123]
	v_mul_f64_e32 v[122:123], s[26:27], v[122:123]
	s_delay_alu instid0(VALU_DEP_4) | instskip(SKIP_4) | instid1(VALU_DEP_4)
	v_add_f64_e32 v[200:201], v[200:201], v[14:15]
	v_fma_f64 v[14:15], v[116:117], s[14:15], v[202:203]
	v_add_f64_e32 v[132:133], v[132:133], v[130:131]
	v_fma_f64 v[130:131], v[116:117], s[14:15], -v[202:203]
	v_mul_f64_e32 v[202:203], s[30:31], v[60:61]
	v_add_f64_e32 v[2:3], v[14:15], v[12:13]
	v_fma_f64 v[12:13], v[32:33], s[14:15], -v[204:205]
	v_mul_f64_e32 v[204:205], s[30:31], v[62:63]
	s_delay_alu instid0(VALU_DEP_2)
	v_add_f64_e32 v[0:1], v[12:13], v[200:201]
	v_mul_f64_e32 v[200:201], s[48:49], v[112:113]
	v_mul_f64_e32 v[12:13], s[52:53], v[112:113]
	scratch_store_b128 off, v[0:3], off offset:96 ; 16-byte Folded Spill
	v_add_f64_e32 v[0:1], v[134:135], v[132:133]
	v_fma_f64 v[132:133], v[98:99], s[14:15], v[162:163]
	v_fma_f64 v[134:135], v[96:97], s[14:15], -v[164:165]
	v_add_f64_e32 v[2:3], v[130:131], v[128:129]
	v_dual_mov_b32 v131, v79 :: v_dual_mov_b32 v130, v78
	v_dual_mov_b32 v129, v77 :: v_dual_mov_b32 v128, v76
	v_mul_f64_e32 v[78:79], s[42:43], v[102:103]
	v_mul_f64_e32 v[76:77], s[24:25], v[102:103]
	v_add_f64_e32 v[132:133], v[132:133], v[140:141]
	v_add_f64_e32 v[134:135], v[134:135], v[168:169]
	v_mul_f64_e32 v[168:169], s[28:29], v[100:101]
	scratch_store_b128 off, v[0:3], off offset:144 ; 16-byte Folded Spill
	v_mul_f64_e32 v[0:1], s[48:49], v[126:127]
	v_fma_f64 v[14:15], v[96:97], s[10:11], v[76:77]
	v_add_f64_e32 v[132:133], v[138:139], v[132:133]
	v_fma_f64 v[138:139], v[30:31], s[22:23], -v[168:169]
	scratch_store_b64 off, v[0:1], off offset:192 ; 8-byte Folded Spill
	v_add_f64_e32 v[14:15], v[14:15], v[174:175]
	v_mul_f64_e32 v[174:175], s[44:45], v[124:125]
	v_add_f64_e32 v[134:135], v[138:139], v[134:135]
	v_fma_f64 v[138:139], v[18:19], s[6:7], v[178:179]
	s_delay_alu instid0(VALU_DEP_4) | instskip(NEXT) | instid1(VALU_DEP_4)
	v_add_f64_e32 v[14:15], v[90:91], v[14:15]
	v_fma_f64 v[146:147], v[104:105], s[4:5], -v[174:175]
	v_mul_f64_e32 v[90:91], s[52:53], v[110:111]
	s_delay_alu instid0(VALU_DEP_4) | instskip(SKIP_1) | instid1(VALU_DEP_4)
	v_add_f64_e32 v[132:133], v[138:139], v[132:133]
	v_fma_f64 v[138:139], v[16:17], s[6:7], -v[180:181]
	v_add_f64_e32 v[10:11], v[146:147], v[10:11]
	s_delay_alu instid0(VALU_DEP_4) | instskip(NEXT) | instid1(VALU_DEP_3)
	v_fma_f64 v[146:147], v[18:19], s[14:15], -v[90:91]
	v_add_f64_e32 v[134:135], v[138:139], v[134:135]
	v_fma_f64 v[138:139], v[22:23], s[16:17], v[192:193]
	s_delay_alu instid0(VALU_DEP_3) | instskip(SKIP_1) | instid1(VALU_DEP_3)
	v_add_f64_e32 v[10:11], v[146:147], v[10:11]
	v_fma_f64 v[146:147], v[16:17], s[14:15], v[218:219]
	v_add_f64_e32 v[132:133], v[138:139], v[132:133]
	v_fma_f64 v[138:139], v[20:21], s[16:17], -v[194:195]
	s_delay_alu instid0(VALU_DEP_3) | instskip(SKIP_1) | instid1(VALU_DEP_3)
	v_add_f64_e32 v[14:15], v[146:147], v[14:15]
	v_fma_f64 v[146:147], v[22:23], s[20:21], -v[160:161]
	v_add_f64_e32 v[134:135], v[138:139], v[134:135]
	v_fma_f64 v[138:139], v[28:29], s[20:21], v[196:197]
	s_delay_alu instid0(VALU_DEP_3) | instskip(SKIP_1) | instid1(VALU_DEP_3)
	v_add_f64_e32 v[10:11], v[146:147], v[10:11]
	v_fma_f64 v[146:147], v[20:21], s[20:21], v[220:221]
	v_add_f64_e32 v[132:133], v[138:139], v[132:133]
	v_fma_f64 v[138:139], v[26:27], s[20:21], -v[200:201]
	s_delay_alu instid0(VALU_DEP_3) | instskip(SKIP_1) | instid1(VALU_DEP_3)
	v_add_f64_e32 v[14:15], v[146:147], v[14:15]
	;; [unrolled: 10-line block ×4, first 2 shown]
	v_fma_f64 v[146:147], v[116:117], s[6:7], -v[226:227]
	v_add_f64_e32 v[132:133], v[132:133], v[138:139]
	v_fma_f64 v[138:139], v[98:99], s[20:21], -v[0:1]
	v_mul_f64_e32 v[0:1], s[48:49], v[102:103]
	s_delay_alu instid0(VALU_DEP_2) | instskip(SKIP_4) | instid1(VALU_DEP_3)
	v_add_f64_e32 v[138:139], v[138:139], v[144:145]
	scratch_store_b64 off, v[0:1], off offset:200 ; 8-byte Folded Spill
	v_fma_f64 v[140:141], v[96:97], s[20:21], v[0:1]
	v_mul_f64_e32 v[0:1], s[36:37], v[124:125]
	v_mul_f64_e32 v[124:125], s[34:35], v[124:125]
	v_add_f64_e32 v[140:141], v[140:141], v[148:149]
	scratch_store_b64 off, v[0:1], off offset:208 ; 8-byte Folded Spill
	v_fma_f64 v[144:145], v[104:105], s[18:19], -v[0:1]
	v_mul_f64_e32 v[0:1], s[36:37], v[100:101]
	v_fma_f64 v[148:149], v[104:105], s[10:11], -v[242:243]
	s_delay_alu instid0(VALU_DEP_3) | instskip(SKIP_4) | instid1(VALU_DEP_3)
	v_add_f64_e32 v[138:139], v[144:145], v[138:139]
	scratch_store_b64 off, v[0:1], off offset:216 ; 8-byte Folded Spill
	v_fma_f64 v[144:145], v[30:31], s[18:19], v[0:1]
	v_mul_f64_e32 v[0:1], s[42:43], v[110:111]
	v_mul_f64_e32 v[110:111], s[36:37], v[110:111]
	v_add_f64_e32 v[140:141], v[144:145], v[140:141]
	scratch_store_b64 off, v[0:1], off offset:224 ; 8-byte Folded Spill
	v_fma_f64 v[144:145], v[18:19], s[16:17], -v[0:1]
	v_mul_f64_e32 v[0:1], s[42:43], v[106:107]
	v_mul_f64_e32 v[106:107], s[36:37], v[106:107]
	s_delay_alu instid0(VALU_DEP_3) | instskip(SKIP_3) | instid1(VALU_DEP_2)
	v_add_f64_e32 v[138:139], v[144:145], v[138:139]
	scratch_store_b64 off, v[0:1], off offset:232 ; 8-byte Folded Spill
	v_fma_f64 v[144:145], v[16:17], s[16:17], v[0:1]
	v_mul_f64_e32 v[0:1], s[46:47], v[114:115]
	v_add_f64_e32 v[140:141], v[144:145], v[140:141]
	scratch_store_b64 off, v[0:1], off offset:240 ; 8-byte Folded Spill
	v_fma_f64 v[144:145], v[22:23], s[14:15], -v[0:1]
	v_mul_f64_e32 v[0:1], s[46:47], v[108:109]
	s_mov_b32 s47, 0x3fe0d888
	s_mov_b32 s46, s38
	s_wait_alu 0xfffe
	v_mul_f64_e32 v[250:251], s[46:47], v[114:115]
	v_mul_f64_e32 v[252:253], s[46:47], v[108:109]
	;; [unrolled: 1-line block ×4, first 2 shown]
	v_add_f64_e32 v[138:139], v[144:145], v[138:139]
	v_fma_f64 v[144:145], v[20:21], s[14:15], v[0:1]
	scratch_store_b64 off, v[0:1], off offset:248 ; 8-byte Folded Spill
	v_mul_f64_e32 v[0:1], s[38:39], v[60:61]
	v_add_f64_e32 v[140:141], v[144:145], v[140:141]
	v_fma_f64 v[144:145], v[28:29], s[10:11], -v[176:177]
	scratch_store_b64 off, v[0:1], off offset:256 ; 8-byte Folded Spill
	v_add_f64_e32 v[138:139], v[144:145], v[138:139]
	v_fma_f64 v[144:145], v[26:27], s[10:11], v[170:171]
	s_delay_alu instid0(VALU_DEP_1) | instskip(SKIP_2) | instid1(VALU_DEP_2)
	v_add_f64_e32 v[140:141], v[144:145], v[140:141]
	v_fma_f64 v[144:145], v[34:35], s[6:7], -v[0:1]
	v_mul_f64_e32 v[0:1], s[38:39], v[62:63]
	v_add_f64_e32 v[138:139], v[144:145], v[138:139]
	s_delay_alu instid0(VALU_DEP_2)
	v_fma_f64 v[144:145], v[24:25], s[6:7], v[0:1]
	scratch_store_b64 off, v[0:1], off offset:264 ; 8-byte Folded Spill
	v_dual_mov_b32 v0, v80 :: v_dual_mov_b32 v1, v81
	v_dual_mov_b32 v2, v82 :: v_dual_mov_b32 v3, v83
	;; [unrolled: 1-line block ×8, first 2 shown]
	v_mul_f64_e32 v[48:49], s[34:35], v[118:119]
	v_mul_f64_e32 v[118:119], s[24:25], v[118:119]
	v_add_f64_e32 v[144:145], v[144:145], v[140:141]
	v_fma_f64 v[140:141], v[116:117], s[4:5], -v[88:89]
	s_delay_alu instid0(VALU_DEP_4) | instskip(NEXT) | instid1(VALU_DEP_2)
	v_fma_f64 v[50:51], v[116:117], s[20:21], -v[48:49]
	v_add_f64_e32 v[140:141], v[140:141], v[138:139]
	v_fma_f64 v[138:139], v[32:33], s[4:5], v[182:183]
	s_delay_alu instid0(VALU_DEP_1) | instskip(SKIP_1) | instid1(VALU_DEP_1)
	v_add_f64_e32 v[138:139], v[138:139], v[144:145]
	v_fma_f64 v[144:145], v[98:99], s[16:17], -v[4:5]
	v_add_f64_e32 v[142:143], v[144:145], v[142:143]
	v_fma_f64 v[144:145], v[96:97], s[16:17], v[78:79]
	s_delay_alu instid0(VALU_DEP_2) | instskip(NEXT) | instid1(VALU_DEP_2)
	v_add_f64_e32 v[142:143], v[148:149], v[142:143]
	v_add_f64_e32 v[144:145], v[144:145], v[150:151]
	v_fma_f64 v[148:149], v[30:31], s[10:11], v[244:245]
	s_delay_alu instid0(VALU_DEP_1) | instskip(SKIP_1) | instid1(VALU_DEP_1)
	v_add_f64_e32 v[144:145], v[148:149], v[144:145]
	v_fma_f64 v[148:149], v[18:19], s[4:5], -v[246:247]
	v_add_f64_e32 v[142:143], v[148:149], v[142:143]
	v_fma_f64 v[148:149], v[16:17], s[4:5], v[248:249]
	s_delay_alu instid0(VALU_DEP_1) | instskip(SKIP_1) | instid1(VALU_DEP_1)
	v_add_f64_e32 v[144:145], v[148:149], v[144:145]
	v_fma_f64 v[148:149], v[22:23], s[6:7], -v[250:251]
	;; [unrolled: 5-line block ×4, first 2 shown]
	v_add_f64_e32 v[142:143], v[148:149], v[142:143]
	v_fma_f64 v[148:149], v[24:25], s[18:19], v[8:9]
	s_delay_alu instid0(VALU_DEP_1) | instskip(NEXT) | instid1(VALU_DEP_3)
	v_add_f64_e32 v[148:149], v[148:149], v[144:145]
	v_add_f64_e32 v[144:145], v[6:7], v[142:143]
	v_mul_f64_e32 v[6:7], s[40:41], v[120:121]
	s_delay_alu instid0(VALU_DEP_1) | instskip(SKIP_1) | instid1(VALU_DEP_2)
	v_fma_f64 v[142:143], v[32:33], s[22:23], v[6:7]
	v_fma_f64 v[6:7], v[32:33], s[22:23], -v[6:7]
	v_add_f64_e32 v[142:143], v[142:143], v[148:149]
	v_add_f64_e32 v[148:149], v[146:147], v[10:11]
	v_mul_f64_e32 v[10:11], s[38:39], v[120:121]
	s_delay_alu instid0(VALU_DEP_1) | instskip(SKIP_1) | instid1(VALU_DEP_2)
	v_fma_f64 v[146:147], v[32:33], s[6:7], v[10:11]
	v_fma_f64 v[10:11], v[32:33], s[6:7], -v[10:11]
	v_add_f64_e32 v[146:147], v[146:147], v[14:15]
	v_mul_f64_e32 v[14:15], s[30:31], v[126:127]
	s_delay_alu instid0(VALU_DEP_1) | instskip(SKIP_1) | instid1(VALU_DEP_2)
	v_fma_f64 v[150:151], v[98:99], s[4:5], -v[14:15]
	v_fma_f64 v[14:15], v[98:99], s[4:5], v[14:15]
	v_add_f64_e32 v[92:93], v[150:151], v[92:93]
	v_fma_f64 v[150:151], v[96:97], s[4:5], v[228:229]
	s_delay_alu instid0(VALU_DEP_1) | instskip(SKIP_1) | instid1(VALU_DEP_1)
	v_add_f64_e32 v[94:95], v[150:151], v[94:95]
	v_fma_f64 v[150:151], v[104:105], s[14:15], -v[190:191]
	v_add_f64_e32 v[92:93], v[150:151], v[92:93]
	v_fma_f64 v[150:151], v[30:31], s[14:15], v[230:231]
	s_delay_alu instid0(VALU_DEP_1) | instskip(SKIP_1) | instid1(VALU_DEP_1)
	v_add_f64_e32 v[94:95], v[150:151], v[94:95]
	v_fma_f64 v[150:151], v[18:19], s[22:23], -v[188:189]
	;; [unrolled: 5-line block ×3, first 2 shown]
	v_add_f64_e32 v[92:93], v[150:151], v[92:93]
	v_fma_f64 v[150:151], v[20:21], s[18:19], v[236:237]
	s_delay_alu instid0(VALU_DEP_2) | instskip(SKIP_1) | instid1(VALU_DEP_3)
	v_add_f64_e32 v[42:43], v[42:43], v[92:93]
	v_mul_f64_e32 v[92:93], s[38:39], v[112:113]
	v_add_f64_e32 v[94:95], v[150:151], v[94:95]
	v_mul_f64_e32 v[112:113], s[26:27], v[112:113]
	s_delay_alu instid0(VALU_DEP_4) | instskip(NEXT) | instid1(VALU_DEP_4)
	v_add_f64_e32 v[42:43], v[46:47], v[42:43]
	v_fma_f64 v[150:151], v[26:27], s[6:7], v[92:93]
	v_mul_f64_e32 v[46:47], s[50:51], v[62:63]
	s_delay_alu instid0(VALU_DEP_3) | instskip(NEXT) | instid1(VALU_DEP_3)
	v_add_f64_e32 v[152:153], v[50:51], v[42:43]
	v_add_f64_e32 v[94:95], v[150:151], v[94:95]
	s_delay_alu instid0(VALU_DEP_3) | instskip(SKIP_2) | instid1(VALU_DEP_3)
	v_fma_f64 v[150:151], v[24:25], s[10:11], v[46:47]
	v_mul_f64_e32 v[42:43], s[34:35], v[120:121]
	v_mul_f64_e32 v[120:121], s[24:25], v[120:121]
	v_add_f64_e32 v[94:95], v[150:151], v[94:95]
	s_delay_alu instid0(VALU_DEP_3) | instskip(SKIP_1) | instid1(VALU_DEP_2)
	v_fma_f64 v[50:51], v[32:33], s[20:21], v[42:43]
	v_fma_f64 v[42:43], v[32:33], s[20:21], -v[42:43]
	v_add_f64_e32 v[150:151], v[50:51], v[94:95]
	v_mul_f64_e32 v[50:51], s[46:47], v[126:127]
	v_mul_f64_e32 v[126:127], s[46:47], v[102:103]
	s_delay_alu instid0(VALU_DEP_2) | instskip(NEXT) | instid1(VALU_DEP_2)
	v_fma_f64 v[94:95], v[98:99], s[6:7], -v[50:51]
	v_fma_f64 v[102:103], v[96:97], s[6:7], v[126:127]
	v_fma_f64 v[50:51], v[98:99], s[6:7], v[50:51]
	s_delay_alu instid0(VALU_DEP_3) | instskip(SKIP_1) | instid1(VALU_DEP_4)
	v_add_f64_e32 v[94:95], v[94:95], v[186:187]
	v_fma_f64 v[186:187], v[104:105], s[20:21], -v[124:125]
	v_add_f64_e32 v[102:103], v[102:103], v[154:155]
	v_dual_mov_b32 v157, v67 :: v_dual_mov_b32 v156, v66
	v_dual_mov_b32 v155, v65 :: v_dual_mov_b32 v154, v64
	;; [unrolled: 1-line block ×4, first 2 shown]
	v_mul_f64_e32 v[52:53], s[28:29], v[60:61]
	v_fma_f64 v[124:125], v[104:105], s[20:21], v[124:125]
	v_add_f64_e32 v[94:95], v[186:187], v[94:95]
	v_mul_f64_e32 v[186:187], s[34:35], v[100:101]
	s_delay_alu instid0(VALU_DEP_4) | instskip(SKIP_1) | instid1(VALU_DEP_3)
	v_fma_f64 v[54:55], v[34:35], s[22:23], -v[52:53]
	v_fma_f64 v[52:53], v[34:35], s[22:23], v[52:53]
	v_fma_f64 v[100:101], v[30:31], s[20:21], v[186:187]
	s_delay_alu instid0(VALU_DEP_1) | instskip(SKIP_2) | instid1(VALU_DEP_2)
	v_add_f64_e32 v[100:101], v[100:101], v[102:103]
	v_fma_f64 v[102:103], v[18:19], s[18:19], -v[110:111]
	v_fma_f64 v[110:111], v[18:19], s[18:19], v[110:111]
	v_add_f64_e32 v[94:95], v[102:103], v[94:95]
	v_fma_f64 v[102:103], v[16:17], s[18:19], v[106:107]
	v_fma_f64 v[106:107], v[16:17], s[18:19], -v[106:107]
	s_delay_alu instid0(VALU_DEP_2) | instskip(SKIP_1) | instid1(VALU_DEP_1)
	v_add_f64_e32 v[100:101], v[102:103], v[100:101]
	v_fma_f64 v[102:103], v[22:23], s[4:5], -v[114:115]
	v_add_f64_e32 v[94:95], v[102:103], v[94:95]
	v_fma_f64 v[102:103], v[20:21], s[4:5], v[108:109]
	s_delay_alu instid0(VALU_DEP_1) | instskip(SKIP_1) | instid1(VALU_DEP_1)
	v_add_f64_e32 v[100:101], v[102:103], v[100:101]
	v_fma_f64 v[102:103], v[28:29], s[16:17], -v[122:123]
	v_add_f64_e32 v[94:95], v[102:103], v[94:95]
	v_fma_f64 v[102:103], v[26:27], s[16:17], v[112:113]
	s_delay_alu instid0(VALU_DEP_2) | instskip(SKIP_1) | instid1(VALU_DEP_3)
	v_add_f64_e32 v[54:55], v[54:55], v[94:95]
	v_mul_f64_e32 v[94:95], s[28:29], v[62:63]
	v_add_f64_e32 v[100:101], v[102:103], v[100:101]
	scratch_load_b64 v[102:103], off, off offset:176 th:TH_LOAD_LU ; 8-byte Folded Reload
	v_fma_f64 v[62:63], v[116:117], s[10:11], -v[118:119]
	v_fma_f64 v[60:61], v[24:25], s[22:23], v[94:95]
	s_delay_alu instid0(VALU_DEP_2) | instskip(SKIP_1) | instid1(VALU_DEP_3)
	v_add_f64_e32 v[62:63], v[62:63], v[54:55]
	v_fma_f64 v[54:55], v[32:33], s[10:11], v[120:121]
	v_add_f64_e32 v[60:61], v[60:61], v[100:101]
	scratch_load_b64 v[100:101], off, off offset:184 th:TH_LOAD_LU ; 8-byte Folded Reload
	v_add_f64_e32 v[60:61], v[54:55], v[60:61]
	v_fma_f64 v[54:55], v[98:99], s[14:15], -v[162:163]
	v_fma_f64 v[162:163], v[32:33], s[18:19], v[208:209]
	s_wait_loadcnt 0x0
	s_delay_alu instid0(VALU_DEP_2) | instskip(SKIP_1) | instid1(VALU_DEP_1)
	v_add_f64_e32 v[54:55], v[54:55], v[100:101]
	v_fma_f64 v[100:101], v[96:97], s[14:15], v[164:165]
	v_add_f64_e32 v[100:101], v[100:101], v[102:103]
	v_fma_f64 v[102:103], v[104:105], s[22:23], -v[166:167]
	s_delay_alu instid0(VALU_DEP_1) | instskip(SKIP_1) | instid1(VALU_DEP_1)
	v_add_f64_e32 v[54:55], v[102:103], v[54:55]
	v_fma_f64 v[102:103], v[30:31], s[22:23], v[168:169]
	v_add_f64_e32 v[100:101], v[102:103], v[100:101]
	v_fma_f64 v[102:103], v[18:19], s[6:7], -v[178:179]
	s_delay_alu instid0(VALU_DEP_1) | instskip(SKIP_1) | instid1(VALU_DEP_1)
	;; [unrolled: 5-line block ×5, first 2 shown]
	v_add_f64_e32 v[54:55], v[102:103], v[54:55]
	v_fma_f64 v[102:103], v[24:25], s[4:5], v[204:205]
	v_add_f64_e32 v[100:101], v[102:103], v[100:101]
	v_fma_f64 v[102:103], v[116:117], s[18:19], -v[206:207]
	v_dual_mov_b32 v207, v75 :: v_dual_mov_b32 v206, v74
	v_dual_mov_b32 v205, v73 :: v_dual_mov_b32 v204, v72
	;; [unrolled: 1-line block ×4, first 2 shown]
	v_add_f64_e32 v[100:101], v[162:163], v[100:101]
	v_add_f64_e32 v[102:103], v[102:103], v[54:55]
	scratch_load_b64 v[54:55], off, off offset:168 th:TH_LOAD_LU ; 8-byte Folded Reload
	s_wait_loadcnt 0x0
	v_add_f64_e32 v[50:51], v[50:51], v[54:55]
	v_fma_f64 v[54:55], v[96:97], s[6:7], -v[126:127]
	scratch_load_b64 v[126:127], off, off offset:160 th:TH_LOAD_LU ; 8-byte Folded Reload
	v_add_f64_e32 v[50:51], v[124:125], v[50:51]
	v_fma_f64 v[124:125], v[30:31], s[20:21], -v[186:187]
	s_delay_alu instid0(VALU_DEP_2) | instskip(SKIP_2) | instid1(VALU_DEP_1)
	v_add_f64_e32 v[50:51], v[110:111], v[50:51]
	s_wait_loadcnt 0x0
	v_add_f64_e32 v[54:55], v[54:55], v[126:127]
	v_add_f64_e32 v[54:55], v[124:125], v[54:55]
	s_delay_alu instid0(VALU_DEP_1) | instskip(SKIP_1) | instid1(VALU_DEP_1)
	v_add_f64_e32 v[54:55], v[106:107], v[54:55]
	v_fma_f64 v[106:107], v[22:23], s[4:5], v[114:115]
	v_add_f64_e32 v[50:51], v[106:107], v[50:51]
	v_fma_f64 v[106:107], v[20:21], s[4:5], -v[108:109]
	s_delay_alu instid0(VALU_DEP_1) | instskip(SKIP_1) | instid1(VALU_DEP_1)
	v_add_f64_e32 v[54:55], v[106:107], v[54:55]
	v_fma_f64 v[106:107], v[28:29], s[16:17], v[122:123]
	v_add_f64_e32 v[50:51], v[106:107], v[50:51]
	v_fma_f64 v[106:107], v[26:27], s[16:17], -v[112:113]
	s_delay_alu instid0(VALU_DEP_2) | instskip(NEXT) | instid1(VALU_DEP_2)
	v_add_f64_e32 v[50:51], v[52:53], v[50:51]
	v_add_f64_e32 v[54:55], v[106:107], v[54:55]
	v_fma_f64 v[52:53], v[24:25], s[22:23], -v[94:95]
	v_fma_f64 v[94:95], v[32:33], s[10:11], -v[120:121]
	s_delay_alu instid0(VALU_DEP_2) | instskip(SKIP_1) | instid1(VALU_DEP_2)
	v_add_f64_e32 v[52:53], v[52:53], v[54:55]
	v_fma_f64 v[54:55], v[116:117], s[10:11], v[118:119]
	v_add_f64_e32 v[106:107], v[94:95], v[52:53]
	s_delay_alu instid0(VALU_DEP_2)
	v_add_f64_e32 v[108:109], v[54:55], v[50:51]
	scratch_load_b64 v[50:51], off, off offset:136 th:TH_LOAD_LU ; 8-byte Folded Reload
	v_dual_mov_b32 v52, v64 :: v_dual_mov_b32 v53, v65
	v_dual_mov_b32 v54, v66 :: v_dual_mov_b32 v55, v67
	;; [unrolled: 1-line block ×4, first 2 shown]
	s_wait_loadcnt 0x0
	v_add_f64_e32 v[14:15], v[14:15], v[50:51]
	v_fma_f64 v[50:51], v[104:105], s[14:15], v[190:191]
	s_delay_alu instid0(VALU_DEP_1) | instskip(SKIP_1) | instid1(VALU_DEP_1)
	v_add_f64_e32 v[14:15], v[50:51], v[14:15]
	v_fma_f64 v[50:51], v[18:19], s[22:23], v[188:189]
	v_add_f64_e32 v[14:15], v[50:51], v[14:15]
	v_fma_f64 v[50:51], v[22:23], s[18:19], v[234:235]
	s_delay_alu instid0(VALU_DEP_1) | instskip(SKIP_3) | instid1(VALU_DEP_2)
	v_add_f64_e32 v[14:15], v[50:51], v[14:15]
	scratch_load_b64 v[50:51], off, off offset:128 th:TH_LOAD_LU ; 8-byte Folded Reload
	v_add_f64_e32 v[14:15], v[40:41], v[14:15]
	v_fma_f64 v[40:41], v[96:97], s[4:5], -v[228:229]
	v_add_f64_e32 v[14:15], v[44:45], v[14:15]
	v_fma_f64 v[44:45], v[24:25], s[10:11], -v[46:47]
	s_wait_loadcnt 0x0
	s_delay_alu instid0(VALU_DEP_3) | instskip(SKIP_1) | instid1(VALU_DEP_1)
	v_add_f64_e32 v[40:41], v[40:41], v[50:51]
	v_fma_f64 v[50:51], v[30:31], s[14:15], -v[230:231]
	v_add_f64_e32 v[40:41], v[50:51], v[40:41]
	v_fma_f64 v[50:51], v[16:17], s[22:23], -v[232:233]
	s_delay_alu instid0(VALU_DEP_1) | instskip(SKIP_1) | instid1(VALU_DEP_1)
	v_add_f64_e32 v[40:41], v[50:51], v[40:41]
	v_fma_f64 v[50:51], v[20:21], s[18:19], -v[236:237]
	v_add_f64_e32 v[40:41], v[50:51], v[40:41]
	v_fma_f64 v[50:51], v[26:27], s[6:7], -v[92:93]
	s_delay_alu instid0(VALU_DEP_1) | instskip(NEXT) | instid1(VALU_DEP_1)
	v_add_f64_e32 v[40:41], v[50:51], v[40:41]
	v_add_f64_e32 v[40:41], v[44:45], v[40:41]
	v_fma_f64 v[44:45], v[116:117], s[20:21], v[48:49]
	v_dual_mov_b32 v48, v56 :: v_dual_mov_b32 v49, v57
	v_dual_mov_b32 v50, v58 :: v_dual_mov_b32 v51, v59
	;; [unrolled: 1-line block ×8, first 2 shown]
	s_clause 0x1
	scratch_load_b64 v[0:1], off, off offset:120 th:TH_LOAD_LU
	scratch_load_b64 v[2:3], off, off offset:200 th:TH_LOAD_LU
	v_add_f64_e32 v[110:111], v[42:43], v[40:41]
	v_add_f64_e32 v[112:113], v[44:45], v[14:15]
	v_fma_f64 v[14:15], v[98:99], s[10:11], v[184:185]
	v_fma_f64 v[40:41], v[96:97], s[10:11], -v[76:77]
	v_fma_f64 v[42:43], v[104:105], s[4:5], v[174:175]
	s_wait_loadcnt 0x1
	s_delay_alu instid0(VALU_DEP_3)
	v_add_f64_e32 v[14:15], v[14:15], v[0:1]
	scratch_load_b64 v[0:1], off, off offset:112 th:TH_LOAD_LU ; 8-byte Folded Reload
	v_add_f64_e32 v[14:15], v[42:43], v[14:15]
	v_fma_f64 v[42:43], v[30:31], s[4:5], -v[216:217]
	s_wait_loadcnt 0x0
	v_add_f64_e32 v[40:41], v[40:41], v[0:1]
	scratch_load_b64 v[0:1], off, off offset:88 th:TH_LOAD_LU ; 8-byte Folded Reload
	v_add_f64_e32 v[40:41], v[42:43], v[40:41]
	v_fma_f64 v[42:43], v[18:19], s[14:15], v[90:91]
	s_delay_alu instid0(VALU_DEP_1) | instskip(SKIP_1) | instid1(VALU_DEP_1)
	v_add_f64_e32 v[14:15], v[42:43], v[14:15]
	v_fma_f64 v[42:43], v[16:17], s[14:15], -v[218:219]
	v_add_f64_e32 v[40:41], v[42:43], v[40:41]
	v_fma_f64 v[42:43], v[22:23], s[20:21], v[160:161]
	s_delay_alu instid0(VALU_DEP_1) | instskip(SKIP_1) | instid1(VALU_DEP_1)
	v_add_f64_e32 v[14:15], v[42:43], v[14:15]
	v_fma_f64 v[42:43], v[20:21], s[20:21], -v[220:221]
	;; [unrolled: 5-line block ×4, first 2 shown]
	v_add_f64_e32 v[40:41], v[42:43], v[40:41]
	v_fma_f64 v[42:43], v[116:117], s[6:7], v[226:227]
	s_delay_alu instid0(VALU_DEP_2) | instskip(SKIP_1) | instid1(VALU_DEP_3)
	v_add_f64_e32 v[118:119], v[10:11], v[40:41]
	v_fma_f64 v[10:11], v[98:99], s[16:17], v[4:5]
	v_add_f64_e32 v[120:121], v[42:43], v[14:15]
	v_fma_f64 v[14:15], v[96:97], s[16:17], -v[78:79]
	v_fma_f64 v[40:41], v[104:105], s[10:11], v[242:243]
	v_fma_f64 v[4:5], v[116:117], s[4:5], v[88:89]
	v_dual_mov_b32 v76, v128 :: v_dual_mov_b32 v77, v129
	v_dual_mov_b32 v78, v130 :: v_dual_mov_b32 v79, v131
	s_wait_loadcnt 0x0
	v_add_f64_e32 v[10:11], v[10:11], v[0:1]
	scratch_load_b64 v[0:1], off, off offset:80 th:TH_LOAD_LU ; 8-byte Folded Reload
	v_add_f64_e32 v[10:11], v[40:41], v[10:11]
	v_fma_f64 v[40:41], v[30:31], s[10:11], -v[244:245]
	s_wait_loadcnt 0x0
	v_add_f64_e32 v[14:15], v[14:15], v[0:1]
	v_fma_f64 v[0:1], v[26:27], s[14:15], -v[12:13]
	s_delay_alu instid0(VALU_DEP_2) | instskip(SKIP_1) | instid1(VALU_DEP_1)
	v_add_f64_e32 v[14:15], v[40:41], v[14:15]
	v_fma_f64 v[40:41], v[18:19], s[4:5], v[246:247]
	v_add_f64_e32 v[10:11], v[40:41], v[10:11]
	v_fma_f64 v[40:41], v[16:17], s[4:5], -v[248:249]
	s_delay_alu instid0(VALU_DEP_1) | instskip(SKIP_1) | instid1(VALU_DEP_1)
	v_add_f64_e32 v[14:15], v[40:41], v[14:15]
	v_fma_f64 v[40:41], v[22:23], s[6:7], v[250:251]
	v_add_f64_e32 v[10:11], v[40:41], v[10:11]
	v_fma_f64 v[40:41], v[20:21], s[6:7], -v[252:253]
	s_delay_alu instid0(VALU_DEP_1) | instskip(SKIP_1) | instid1(VALU_DEP_2)
	v_add_f64_e32 v[14:15], v[40:41], v[14:15]
	v_fma_f64 v[40:41], v[28:29], s[14:15], v[198:199]
	v_add_f64_e32 v[0:1], v[0:1], v[14:15]
	s_delay_alu instid0(VALU_DEP_2) | instskip(SKIP_4) | instid1(VALU_DEP_1)
	v_add_f64_e32 v[10:11], v[40:41], v[10:11]
	v_fma_f64 v[14:15], v[34:35], s[18:19], v[136:137]
	scratch_load_b32 v136, off, off offset:8 ; 4-byte Folded Reload
	v_add_f64_e32 v[10:11], v[14:15], v[10:11]
	v_fma_f64 v[14:15], v[24:25], s[18:19], -v[8:9]
	v_add_f64_e32 v[0:1], v[14:15], v[0:1]
	v_fma_f64 v[14:15], v[116:117], s[22:23], v[210:211]
	v_dual_mov_b32 v211, v39 :: v_dual_mov_b32 v210, v38
	v_dual_mov_b32 v209, v37 :: v_dual_mov_b32 v208, v36
	s_delay_alu instid0(VALU_DEP_4)
	v_add_f64_e32 v[92:93], v[6:7], v[0:1]
	scratch_load_b64 v[0:1], off, off offset:192 th:TH_LOAD_LU ; 8-byte Folded Reload
	v_fma_f64 v[6:7], v[96:97], s[20:21], -v[2:3]
	scratch_load_b64 v[2:3], off, off offset:208 th:TH_LOAD_LU ; 8-byte Folded Reload
	v_add_f64_e32 v[94:95], v[14:15], v[10:11]
	s_wait_loadcnt 0x0
	v_fma_f64 v[10:11], v[104:105], s[18:19], v[2:3]
	scratch_load_b64 v[2:3], off, off offset:72 th:TH_LOAD_LU ; 8-byte Folded Reload
	v_fma_f64 v[0:1], v[98:99], s[20:21], v[0:1]
	s_wait_loadcnt 0x0
	s_delay_alu instid0(VALU_DEP_1)
	v_add_f64_e32 v[0:1], v[0:1], v[2:3]
	scratch_load_b64 v[2:3], off, off offset:216 th:TH_LOAD_LU ; 8-byte Folded Reload
	v_add_f64_e32 v[0:1], v[10:11], v[0:1]
	s_wait_loadcnt 0x0
	v_fma_f64 v[14:15], v[30:31], s[18:19], -v[2:3]
	scratch_load_b64 v[2:3], off, off offset:64 th:TH_LOAD_LU ; 8-byte Folded Reload
	s_wait_loadcnt 0x0
	v_add_f64_e32 v[6:7], v[6:7], v[2:3]
	scratch_load_b64 v[2:3], off, off offset:224 th:TH_LOAD_LU ; 8-byte Folded Reload
	v_add_f64_e32 v[6:7], v[14:15], v[6:7]
	s_wait_loadcnt 0x0
	v_fma_f64 v[18:19], v[18:19], s[16:17], v[2:3]
	scratch_load_b64 v[2:3], off, off offset:232 th:TH_LOAD_LU ; 8-byte Folded Reload
	v_add_f64_e32 v[0:1], v[18:19], v[0:1]
	s_wait_loadcnt 0x0
	v_fma_f64 v[10:11], v[16:17], s[16:17], -v[2:3]
	scratch_load_b64 v[2:3], off, off offset:240 th:TH_LOAD_LU ; 8-byte Folded Reload
	v_add_f64_e32 v[6:7], v[10:11], v[6:7]
	v_fma_f64 v[10:11], v[28:29], s[10:11], v[176:177]
	s_wait_loadcnt 0x0
	v_fma_f64 v[14:15], v[22:23], s[14:15], v[2:3]
	scratch_load_b64 v[2:3], off, off offset:248 th:TH_LOAD_LU ; 8-byte Folded Reload
	v_add_f64_e32 v[0:1], v[14:15], v[0:1]
	v_fma_f64 v[14:15], v[26:27], s[10:11], -v[170:171]
	s_delay_alu instid0(VALU_DEP_2) | instskip(SKIP_4) | instid1(VALU_DEP_1)
	v_add_f64_e32 v[0:1], v[10:11], v[0:1]
	s_wait_loadcnt 0x0
	v_fma_f64 v[16:17], v[20:21], s[14:15], -v[2:3]
	scratch_load_b64 v[2:3], off, off offset:256 th:TH_LOAD_LU ; 8-byte Folded Reload
	v_add_f64_e32 v[6:7], v[16:17], v[6:7]
	v_add_f64_e32 v[6:7], v[14:15], v[6:7]
	s_wait_loadcnt 0x0
	v_fma_f64 v[12:13], v[34:35], s[6:7], v[2:3]
	scratch_load_b64 v[2:3], off, off offset:264 th:TH_LOAD_LU ; 8-byte Folded Reload
	v_add_f64_e32 v[0:1], v[12:13], v[0:1]
	s_delay_alu instid0(VALU_DEP_1) | instskip(SKIP_4) | instid1(VALU_DEP_2)
	v_add_f64_e32 v[18:19], v[4:5], v[0:1]
	scratch_load_b32 v0, off, off offset:272 th:TH_LOAD_LU ; 4-byte Folded Reload
	s_wait_loadcnt 0x1
	v_fma_f64 v[8:9], v[24:25], s[6:7], -v[2:3]
	v_fma_f64 v[2:3], v[32:33], s[4:5], -v[182:183]
	v_add_f64_e32 v[6:7], v[8:9], v[6:7]
	s_delay_alu instid0(VALU_DEP_1) | instskip(SKIP_3) | instid1(VALU_DEP_1)
	v_add_f64_e32 v[16:17], v[2:3], v[6:7]
	scratch_load_b128 v[1:4], off, off offset:16 th:TH_LOAD_LU ; 16-byte Folded Reload
	s_wait_loadcnt 0x1
	v_and_b32_e32 v0, 0xffff, v0
	v_lshlrev_b32_e32 v0, 4, v0
	s_wait_loadcnt 0x0
	ds_store_b128 v0, v[1:4]
	ds_store_b128 v0, v[138:141] offset:16
	ds_store_b128 v0, v[142:145] offset:32
	;; [unrolled: 1-line block ×6, first 2 shown]
	scratch_load_b128 v[1:4], off, off offset:144 th:TH_LOAD_LU ; 16-byte Folded Reload
	s_wait_loadcnt 0x0
	ds_store_b128 v0, v[1:4] offset:112
	scratch_load_b128 v[1:4], off, off offset:48 th:TH_LOAD_LU ; 16-byte Folded Reload
	s_wait_loadcnt 0x0
	ds_store_b128 v0, v[1:4] offset:128
	;; [unrolled: 3-line block ×4, first 2 shown]
	ds_store_b128 v0, v[132:135] offset:176
	ds_store_b128 v0, v[106:109] offset:192
	;; [unrolled: 1-line block ×6, first 2 shown]
.LBB0_13:
	s_or_b32 exec_lo, exec_lo, s33
	global_wb scope:SCOPE_SE
	s_wait_storecnt_dscnt 0x0
	s_barrier_signal -1
	s_barrier_wait -1
	global_inv scope:SCOPE_SE
	ds_load_b128 v[0:3], v255 offset:1904
	ds_load_b128 v[4:7], v255 offset:3808
	;; [unrolled: 1-line block ×6, first 2 shown]
	s_mov_b32 s6, 0x37e14327
	s_mov_b32 s10, 0xe976ee23
	;; [unrolled: 1-line block ×14, first 2 shown]
	s_wait_dscnt 0x5
	v_mul_f64_e32 v[24:25], v[54:55], v[2:3]
	v_mul_f64_e32 v[26:27], v[54:55], v[0:1]
	s_wait_dscnt 0x4
	v_mul_f64_e32 v[28:29], v[50:51], v[6:7]
	v_mul_f64_e32 v[30:31], v[50:51], v[4:5]
	s_wait_dscnt 0x3
	v_mul_f64_e32 v[32:33], v[58:59], v[10:11]
	v_mul_f64_e32 v[34:35], v[58:59], v[8:9]
	s_wait_dscnt 0x2
	v_mul_f64_e32 v[36:37], v[214:215], v[14:15]
	v_mul_f64_e32 v[38:39], v[214:215], v[12:13]
	s_wait_dscnt 0x1
	v_mul_f64_e32 v[40:41], v[210:211], v[18:19]
	v_mul_f64_e32 v[42:43], v[210:211], v[16:17]
	s_wait_dscnt 0x0
	v_mul_f64_e32 v[44:45], v[206:207], v[22:23]
	v_mul_f64_e32 v[46:47], v[206:207], v[20:21]
	s_mov_b32 s21, 0xbfe77f67
	s_mov_b32 s25, 0x3fd5d0dc
	s_wait_alu 0xfffe
	s_mov_b32 s20, s18
	s_mov_b32 s24, s22
	;; [unrolled: 1-line block ×4, first 2 shown]
	v_fma_f64 v[0:1], v[52:53], v[0:1], v[24:25]
	v_fma_f64 v[2:3], v[52:53], v[2:3], -v[26:27]
	v_fma_f64 v[4:5], v[48:49], v[4:5], v[28:29]
	v_fma_f64 v[6:7], v[48:49], v[6:7], -v[30:31]
	;; [unrolled: 2-line block ×6, first 2 shown]
	v_add_f64_e32 v[24:25], v[0:1], v[8:9]
	v_add_f64_e32 v[26:27], v[2:3], v[10:11]
	;; [unrolled: 1-line block ×4, first 2 shown]
	v_add_f64_e64 v[4:5], v[4:5], -v[12:13]
	v_add_f64_e64 v[6:7], v[6:7], -v[14:15]
	v_add_f64_e32 v[12:13], v[16:17], v[20:21]
	v_add_f64_e32 v[14:15], v[18:19], v[22:23]
	v_add_f64_e64 v[16:17], v[20:21], -v[16:17]
	v_add_f64_e64 v[18:19], v[22:23], -v[18:19]
	;; [unrolled: 1-line block ×4, first 2 shown]
	v_add_f64_e32 v[0:1], v[28:29], v[24:25]
	v_add_f64_e32 v[2:3], v[30:31], v[26:27]
	v_add_f64_e64 v[20:21], v[24:25], -v[12:13]
	v_add_f64_e64 v[22:23], v[26:27], -v[14:15]
	;; [unrolled: 1-line block ×6, first 2 shown]
	v_add_f64_e32 v[4:5], v[16:17], v[4:5]
	v_add_f64_e32 v[6:7], v[18:19], v[6:7]
	v_add_f64_e64 v[16:17], v[8:9], -v[16:17]
	v_add_f64_e64 v[18:19], v[10:11], -v[18:19]
	;; [unrolled: 1-line block ×4, first 2 shown]
	v_add_f64_e32 v[40:41], v[12:13], v[0:1]
	v_add_f64_e32 v[42:43], v[14:15], v[2:3]
	v_add_f64_e64 v[12:13], v[12:13], -v[28:29]
	v_add_f64_e64 v[14:15], v[14:15], -v[30:31]
	ds_load_b128 v[0:3], v255
	v_mul_f64_e32 v[20:21], s[6:7], v[20:21]
	v_mul_f64_e32 v[22:23], s[6:7], v[22:23]
	v_mul_f64_e32 v[32:33], s[10:11], v[32:33]
	v_mul_f64_e32 v[34:35], s[10:11], v[34:35]
	v_mul_f64_e32 v[44:45], s[4:5], v[36:37]
	v_mul_f64_e32 v[46:47], s[4:5], v[38:39]
	v_add_f64_e32 v[4:5], v[4:5], v[8:9]
	v_add_f64_e32 v[6:7], v[6:7], v[10:11]
	global_wb scope:SCOPE_SE
	s_wait_dscnt 0x0
	s_barrier_signal -1
	s_barrier_wait -1
	global_inv scope:SCOPE_SE
	v_add_f64_e32 v[0:1], v[0:1], v[40:41]
	v_add_f64_e32 v[2:3], v[2:3], v[42:43]
	v_mul_f64_e32 v[28:29], s[14:15], v[12:13]
	v_mul_f64_e32 v[30:31], s[14:15], v[14:15]
	v_fma_f64 v[8:9], v[12:13], s[14:15], v[20:21]
	v_fma_f64 v[10:11], v[14:15], s[14:15], v[22:23]
	;; [unrolled: 1-line block ×4, first 2 shown]
	v_fma_f64 v[32:33], v[36:37], s[4:5], -v[32:33]
	v_fma_f64 v[34:35], v[38:39], s[4:5], -v[34:35]
	s_wait_alu 0xfffe
	v_fma_f64 v[16:17], v[16:17], s[24:25], -v[44:45]
	v_fma_f64 v[18:19], v[18:19], s[24:25], -v[46:47]
	;; [unrolled: 1-line block ×4, first 2 shown]
	v_fma_f64 v[36:37], v[40:41], s[16:17], v[0:1]
	v_fma_f64 v[38:39], v[42:43], s[16:17], v[2:3]
	v_fma_f64 v[24:25], v[24:25], s[18:19], -v[28:29]
	v_fma_f64 v[26:27], v[26:27], s[18:19], -v[30:31]
	v_fma_f64 v[28:29], v[4:5], s[26:27], v[12:13]
	v_fma_f64 v[30:31], v[6:7], s[26:27], v[14:15]
	;; [unrolled: 1-line block ×6, first 2 shown]
	v_add_f64_e32 v[44:45], v[8:9], v[36:37]
	v_add_f64_e32 v[46:47], v[10:11], v[38:39]
	;; [unrolled: 1-line block ×7, first 2 shown]
	v_add_f64_e64 v[6:7], v[46:47], -v[28:29]
	v_add_f64_e32 v[8:9], v[42:43], v[20:21]
	v_add_f64_e64 v[10:11], v[22:23], -v[40:41]
	v_add_f64_e64 v[12:13], v[16:17], -v[34:35]
	v_add_f64_e32 v[14:15], v[32:33], v[18:19]
	v_add_f64_e32 v[16:17], v[34:35], v[16:17]
	v_add_f64_e64 v[18:19], v[18:19], -v[32:33]
	v_add_f64_e64 v[20:21], v[20:21], -v[42:43]
	v_add_f64_e32 v[22:23], v[40:41], v[22:23]
	v_add_f64_e64 v[24:25], v[44:45], -v[30:31]
	v_add_f64_e32 v[26:27], v[28:29], v[46:47]
	ds_store_b128 v254, v[0:3]
	ds_store_b128 v254, v[4:7] offset:272
	ds_store_b128 v254, v[8:11] offset:544
	;; [unrolled: 1-line block ×6, first 2 shown]
	global_wb scope:SCOPE_SE
	s_wait_dscnt 0x0
	s_barrier_signal -1
	s_barrier_wait -1
	global_inv scope:SCOPE_SE
	ds_load_b128 v[0:3], v255 offset:1904
	ds_load_b128 v[4:7], v255 offset:3808
	;; [unrolled: 1-line block ×6, first 2 shown]
	s_wait_dscnt 0x5
	v_mul_f64_e32 v[24:25], v[70:71], v[2:3]
	v_mul_f64_e32 v[26:27], v[70:71], v[0:1]
	s_wait_dscnt 0x4
	v_mul_f64_e32 v[28:29], v[66:67], v[6:7]
	v_mul_f64_e32 v[30:31], v[66:67], v[4:5]
	;; [unrolled: 3-line block ×6, first 2 shown]
	v_fma_f64 v[0:1], v[68:69], v[0:1], v[24:25]
	v_fma_f64 v[2:3], v[68:69], v[2:3], -v[26:27]
	v_fma_f64 v[4:5], v[64:65], v[4:5], v[28:29]
	v_fma_f64 v[6:7], v[64:65], v[6:7], -v[30:31]
	;; [unrolled: 2-line block ×6, first 2 shown]
	v_add_f64_e32 v[24:25], v[0:1], v[8:9]
	v_add_f64_e32 v[26:27], v[2:3], v[10:11]
	v_add_f64_e32 v[28:29], v[4:5], v[12:13]
	v_add_f64_e32 v[30:31], v[6:7], v[14:15]
	v_add_f64_e64 v[4:5], v[4:5], -v[12:13]
	v_add_f64_e64 v[6:7], v[6:7], -v[14:15]
	v_add_f64_e32 v[12:13], v[16:17], v[20:21]
	v_add_f64_e32 v[14:15], v[18:19], v[22:23]
	v_add_f64_e64 v[16:17], v[20:21], -v[16:17]
	v_add_f64_e64 v[18:19], v[22:23], -v[18:19]
	;; [unrolled: 1-line block ×4, first 2 shown]
	v_add_f64_e32 v[0:1], v[28:29], v[24:25]
	v_add_f64_e32 v[2:3], v[30:31], v[26:27]
	v_add_f64_e64 v[20:21], v[24:25], -v[12:13]
	v_add_f64_e64 v[22:23], v[26:27], -v[14:15]
	v_add_f64_e64 v[32:33], v[16:17], -v[4:5]
	v_add_f64_e64 v[34:35], v[18:19], -v[6:7]
	v_add_f64_e64 v[36:37], v[4:5], -v[8:9]
	v_add_f64_e64 v[38:39], v[6:7], -v[10:11]
	v_add_f64_e32 v[4:5], v[16:17], v[4:5]
	v_add_f64_e32 v[6:7], v[18:19], v[6:7]
	v_add_f64_e64 v[16:17], v[8:9], -v[16:17]
	v_add_f64_e64 v[18:19], v[10:11], -v[18:19]
	;; [unrolled: 1-line block ×4, first 2 shown]
	v_add_f64_e32 v[40:41], v[12:13], v[0:1]
	v_add_f64_e32 v[42:43], v[14:15], v[2:3]
	v_add_f64_e64 v[12:13], v[12:13], -v[28:29]
	v_add_f64_e64 v[14:15], v[14:15], -v[30:31]
	ds_load_b128 v[0:3], v255
	v_mul_f64_e32 v[20:21], s[6:7], v[20:21]
	v_mul_f64_e32 v[22:23], s[6:7], v[22:23]
	;; [unrolled: 1-line block ×6, first 2 shown]
	v_add_f64_e32 v[4:5], v[4:5], v[8:9]
	v_add_f64_e32 v[6:7], v[6:7], v[10:11]
	s_wait_dscnt 0x0
	v_add_f64_e32 v[0:1], v[0:1], v[40:41]
	v_add_f64_e32 v[2:3], v[2:3], v[42:43]
	v_mul_f64_e32 v[28:29], s[14:15], v[12:13]
	v_mul_f64_e32 v[30:31], s[14:15], v[14:15]
	v_fma_f64 v[8:9], v[12:13], s[14:15], v[20:21]
	v_fma_f64 v[10:11], v[14:15], s[14:15], v[22:23]
	;; [unrolled: 1-line block ×4, first 2 shown]
	v_fma_f64 v[32:33], v[36:37], s[4:5], -v[32:33]
	v_fma_f64 v[34:35], v[38:39], s[4:5], -v[34:35]
	v_fma_f64 v[16:17], v[16:17], s[24:25], -v[44:45]
	v_fma_f64 v[18:19], v[18:19], s[24:25], -v[46:47]
	v_fma_f64 v[20:21], v[24:25], s[20:21], -v[20:21]
	v_fma_f64 v[22:23], v[26:27], s[20:21], -v[22:23]
	v_fma_f64 v[36:37], v[40:41], s[16:17], v[0:1]
	v_fma_f64 v[38:39], v[42:43], s[16:17], v[2:3]
	v_fma_f64 v[24:25], v[24:25], s[18:19], -v[28:29]
	v_fma_f64 v[26:27], v[26:27], s[18:19], -v[30:31]
	v_fma_f64 v[28:29], v[4:5], s[26:27], v[12:13]
	v_fma_f64 v[30:31], v[6:7], s[26:27], v[14:15]
	;; [unrolled: 1-line block ×6, first 2 shown]
	v_add_f64_e32 v[44:45], v[8:9], v[36:37]
	v_add_f64_e32 v[46:47], v[10:11], v[38:39]
	;; [unrolled: 1-line block ×7, first 2 shown]
	v_add_f64_e64 v[6:7], v[46:47], -v[28:29]
	v_add_f64_e32 v[8:9], v[42:43], v[20:21]
	v_add_f64_e64 v[10:11], v[22:23], -v[40:41]
	v_add_f64_e64 v[12:13], v[16:17], -v[34:35]
	v_add_f64_e32 v[14:15], v[32:33], v[18:19]
	v_add_f64_e32 v[16:17], v[34:35], v[16:17]
	v_add_f64_e64 v[18:19], v[18:19], -v[32:33]
	v_add_f64_e64 v[20:21], v[20:21], -v[42:43]
	v_add_f64_e32 v[22:23], v[40:41], v[22:23]
	v_add_f64_e64 v[24:25], v[44:45], -v[30:31]
	v_add_f64_e32 v[26:27], v[28:29], v[46:47]
	ds_store_b128 v255, v[0:3]
	ds_store_b128 v255, v[4:7] offset:1904
	ds_store_b128 v255, v[8:11] offset:3808
	;; [unrolled: 1-line block ×6, first 2 shown]
	global_wb scope:SCOPE_SE
	s_wait_dscnt 0x0
	s_barrier_signal -1
	s_barrier_wait -1
	global_inv scope:SCOPE_SE
	s_and_b32 exec_lo, exec_lo, vcc_lo
	s_cbranch_execz .LBB0_15
; %bb.14:
	global_load_b128 v[0:3], v255, s[8:9]
	ds_load_b128 v[4:7], v255
	ds_load_b128 v[8:11], v255 offset:784
	ds_load_b128 v[12:15], v255 offset:12544
	s_mov_b32 s4, 0xca869b81
	s_mov_b32 s5, 0x3f53ab2d
	s_wait_loadcnt_dscnt 0x2
	v_mul_f64_e32 v[16:17], v[6:7], v[2:3]
	v_mul_f64_e32 v[2:3], v[4:5], v[2:3]
	s_delay_alu instid0(VALU_DEP_2) | instskip(NEXT) | instid1(VALU_DEP_2)
	v_fma_f64 v[4:5], v[4:5], v[0:1], v[16:17]
	v_fma_f64 v[2:3], v[0:1], v[6:7], -v[2:3]
	scratch_load_b64 v[0:1], off, off th:TH_LOAD_LU ; 8-byte Folded Reload
	v_mad_co_u64_u32 v[16:17], null, s0, v136, 0
	s_wait_alu 0xfffe
	v_mul_f64_e32 v[2:3], s[4:5], v[2:3]
	s_wait_loadcnt 0x0
	v_mov_b32_e32 v18, v0
	v_mul_f64_e32 v[0:1], s[4:5], v[4:5]
	s_delay_alu instid0(VALU_DEP_4) | instskip(NEXT) | instid1(VALU_DEP_3)
	v_mov_b32_e32 v5, v17
	v_mad_co_u64_u32 v[6:7], null, s2, v18, 0
	s_delay_alu instid0(VALU_DEP_1) | instskip(NEXT) | instid1(VALU_DEP_1)
	v_mov_b32_e32 v4, v7
	v_mad_co_u64_u32 v[17:18], null, s3, v18, v[4:5]
	s_delay_alu instid0(VALU_DEP_3) | instskip(SKIP_1) | instid1(VALU_DEP_2)
	v_mad_co_u64_u32 v[4:5], null, s1, v136, v[5:6]
	s_mul_u64 s[0:1], s[0:1], 0x310
	v_mov_b32_e32 v7, v17
	s_delay_alu instid0(VALU_DEP_2) | instskip(NEXT) | instid1(VALU_DEP_2)
	v_mov_b32_e32 v17, v4
	v_lshlrev_b64_e32 v[4:5], 4, v[6:7]
	s_delay_alu instid0(VALU_DEP_2) | instskip(NEXT) | instid1(VALU_DEP_2)
	v_lshlrev_b64_e32 v[6:7], 4, v[16:17]
	v_add_co_u32 v4, vcc_lo, s12, v4
	s_delay_alu instid0(VALU_DEP_3) | instskip(NEXT) | instid1(VALU_DEP_2)
	v_add_co_ci_u32_e32 v5, vcc_lo, s13, v5, vcc_lo
	v_add_co_u32 v4, vcc_lo, v4, v6
	s_wait_alu 0xfffd
	s_delay_alu instid0(VALU_DEP_2) | instskip(SKIP_1) | instid1(VALU_DEP_2)
	v_add_co_ci_u32_e32 v5, vcc_lo, v5, v7, vcc_lo
	s_wait_alu 0xfffe
	v_add_co_u32 v16, vcc_lo, v4, s0
	global_store_b128 v[4:5], v[0:3], off
	global_load_b128 v[0:3], v255, s[8:9] offset:784
	s_wait_alu 0xfffd
	v_add_co_ci_u32_e32 v17, vcc_lo, s1, v5, vcc_lo
	s_wait_loadcnt_dscnt 0x1
	v_mul_f64_e32 v[6:7], v[10:11], v[2:3]
	v_mul_f64_e32 v[2:3], v[8:9], v[2:3]
	s_delay_alu instid0(VALU_DEP_2) | instskip(NEXT) | instid1(VALU_DEP_2)
	v_fma_f64 v[6:7], v[8:9], v[0:1], v[6:7]
	v_fma_f64 v[2:3], v[0:1], v[10:11], -v[2:3]
	s_delay_alu instid0(VALU_DEP_2) | instskip(NEXT) | instid1(VALU_DEP_2)
	v_mul_f64_e32 v[0:1], s[4:5], v[6:7]
	v_mul_f64_e32 v[2:3], s[4:5], v[2:3]
	global_store_b128 v[16:17], v[0:3], off
	global_load_b128 v[0:3], v255, s[8:9] offset:1568
	ds_load_b128 v[4:7], v255 offset:1568
	ds_load_b128 v[8:11], v255 offset:2352
	s_wait_loadcnt_dscnt 0x1
	v_mul_f64_e32 v[18:19], v[6:7], v[2:3]
	v_mul_f64_e32 v[2:3], v[4:5], v[2:3]
	s_delay_alu instid0(VALU_DEP_2) | instskip(NEXT) | instid1(VALU_DEP_2)
	v_fma_f64 v[4:5], v[4:5], v[0:1], v[18:19]
	v_fma_f64 v[2:3], v[0:1], v[6:7], -v[2:3]
	s_delay_alu instid0(VALU_DEP_2) | instskip(NEXT) | instid1(VALU_DEP_2)
	v_mul_f64_e32 v[0:1], s[4:5], v[4:5]
	v_mul_f64_e32 v[2:3], s[4:5], v[2:3]
	v_add_co_u32 v4, vcc_lo, v16, s0
	s_wait_alu 0xfffd
	v_add_co_ci_u32_e32 v5, vcc_lo, s1, v17, vcc_lo
	s_delay_alu instid0(VALU_DEP_2) | instskip(SKIP_1) | instid1(VALU_DEP_2)
	v_add_co_u32 v16, vcc_lo, v4, s0
	s_wait_alu 0xfffd
	v_add_co_ci_u32_e32 v17, vcc_lo, s1, v5, vcc_lo
	global_store_b128 v[4:5], v[0:3], off
	global_load_b128 v[0:3], v255, s[8:9] offset:2352
	s_wait_loadcnt_dscnt 0x0
	v_mul_f64_e32 v[6:7], v[10:11], v[2:3]
	v_mul_f64_e32 v[2:3], v[8:9], v[2:3]
	s_delay_alu instid0(VALU_DEP_2) | instskip(NEXT) | instid1(VALU_DEP_2)
	v_fma_f64 v[6:7], v[8:9], v[0:1], v[6:7]
	v_fma_f64 v[2:3], v[0:1], v[10:11], -v[2:3]
	s_delay_alu instid0(VALU_DEP_2) | instskip(NEXT) | instid1(VALU_DEP_2)
	v_mul_f64_e32 v[0:1], s[4:5], v[6:7]
	v_mul_f64_e32 v[2:3], s[4:5], v[2:3]
	global_store_b128 v[16:17], v[0:3], off
	global_load_b128 v[0:3], v255, s[8:9] offset:3136
	ds_load_b128 v[4:7], v255 offset:3136
	ds_load_b128 v[8:11], v255 offset:3920
	s_wait_loadcnt_dscnt 0x1
	v_mul_f64_e32 v[18:19], v[6:7], v[2:3]
	v_mul_f64_e32 v[2:3], v[4:5], v[2:3]
	s_delay_alu instid0(VALU_DEP_2) | instskip(NEXT) | instid1(VALU_DEP_2)
	v_fma_f64 v[4:5], v[4:5], v[0:1], v[18:19]
	v_fma_f64 v[2:3], v[0:1], v[6:7], -v[2:3]
	s_delay_alu instid0(VALU_DEP_2) | instskip(NEXT) | instid1(VALU_DEP_2)
	v_mul_f64_e32 v[0:1], s[4:5], v[4:5]
	v_mul_f64_e32 v[2:3], s[4:5], v[2:3]
	v_add_co_u32 v4, vcc_lo, v16, s0
	s_wait_alu 0xfffd
	v_add_co_ci_u32_e32 v5, vcc_lo, s1, v17, vcc_lo
	s_delay_alu instid0(VALU_DEP_2) | instskip(SKIP_1) | instid1(VALU_DEP_2)
	v_add_co_u32 v16, vcc_lo, v4, s0
	s_wait_alu 0xfffd
	v_add_co_ci_u32_e32 v17, vcc_lo, s1, v5, vcc_lo
	global_store_b128 v[4:5], v[0:3], off
	global_load_b128 v[0:3], v255, s[8:9] offset:3920
	;; [unrolled: 31-line block ×6, first 2 shown]
	s_wait_loadcnt_dscnt 0x0
	v_mul_f64_e32 v[6:7], v[10:11], v[2:3]
	v_mul_f64_e32 v[2:3], v[8:9], v[2:3]
	s_delay_alu instid0(VALU_DEP_2) | instskip(NEXT) | instid1(VALU_DEP_2)
	v_fma_f64 v[6:7], v[8:9], v[0:1], v[6:7]
	v_fma_f64 v[2:3], v[0:1], v[10:11], -v[2:3]
	s_delay_alu instid0(VALU_DEP_2) | instskip(NEXT) | instid1(VALU_DEP_2)
	v_mul_f64_e32 v[0:1], s[4:5], v[6:7]
	v_mul_f64_e32 v[2:3], s[4:5], v[2:3]
	global_store_b128 v[16:17], v[0:3], off
	global_load_b128 v[0:3], v255, s[8:9] offset:10976
	ds_load_b128 v[4:7], v255 offset:10976
	ds_load_b128 v[8:11], v255 offset:11760
	s_wait_loadcnt_dscnt 0x1
	v_mul_f64_e32 v[18:19], v[6:7], v[2:3]
	v_mul_f64_e32 v[2:3], v[4:5], v[2:3]
	s_delay_alu instid0(VALU_DEP_2) | instskip(NEXT) | instid1(VALU_DEP_2)
	v_fma_f64 v[4:5], v[4:5], v[0:1], v[18:19]
	v_fma_f64 v[2:3], v[0:1], v[6:7], -v[2:3]
	s_delay_alu instid0(VALU_DEP_2) | instskip(NEXT) | instid1(VALU_DEP_2)
	v_mul_f64_e32 v[0:1], s[4:5], v[4:5]
	v_mul_f64_e32 v[2:3], s[4:5], v[2:3]
	v_add_co_u32 v4, vcc_lo, v16, s0
	s_wait_alu 0xfffd
	v_add_co_ci_u32_e32 v5, vcc_lo, s1, v17, vcc_lo
	global_store_b128 v[4:5], v[0:3], off
	global_load_b128 v[0:3], v255, s[8:9] offset:11760
	v_add_co_u32 v4, vcc_lo, v4, s0
	s_wait_alu 0xfffd
	v_add_co_ci_u32_e32 v5, vcc_lo, s1, v5, vcc_lo
	s_wait_loadcnt_dscnt 0x0
	v_mul_f64_e32 v[6:7], v[10:11], v[2:3]
	v_mul_f64_e32 v[2:3], v[8:9], v[2:3]
	s_delay_alu instid0(VALU_DEP_2) | instskip(NEXT) | instid1(VALU_DEP_2)
	v_fma_f64 v[6:7], v[8:9], v[0:1], v[6:7]
	v_fma_f64 v[2:3], v[0:1], v[10:11], -v[2:3]
	s_delay_alu instid0(VALU_DEP_2) | instskip(NEXT) | instid1(VALU_DEP_2)
	v_mul_f64_e32 v[0:1], s[4:5], v[6:7]
	v_mul_f64_e32 v[2:3], s[4:5], v[2:3]
	global_store_b128 v[4:5], v[0:3], off
	global_load_b128 v[0:3], v255, s[8:9] offset:12544
	v_add_co_u32 v4, vcc_lo, v4, s0
	s_wait_alu 0xfffd
	v_add_co_ci_u32_e32 v5, vcc_lo, s1, v5, vcc_lo
	s_wait_loadcnt 0x0
	v_mul_f64_e32 v[6:7], v[14:15], v[2:3]
	v_mul_f64_e32 v[2:3], v[12:13], v[2:3]
	s_delay_alu instid0(VALU_DEP_2) | instskip(NEXT) | instid1(VALU_DEP_2)
	v_fma_f64 v[6:7], v[12:13], v[0:1], v[6:7]
	v_fma_f64 v[2:3], v[0:1], v[14:15], -v[2:3]
	s_delay_alu instid0(VALU_DEP_2) | instskip(NEXT) | instid1(VALU_DEP_2)
	v_mul_f64_e32 v[0:1], s[4:5], v[6:7]
	v_mul_f64_e32 v[2:3], s[4:5], v[2:3]
	global_store_b128 v[4:5], v[0:3], off
.LBB0_15:
	s_endpgm
	.section	.rodata,"a",@progbits
	.p2align	6, 0x0
	.amdhsa_kernel bluestein_single_back_len833_dim1_dp_op_CI_CI
		.amdhsa_group_segment_fixed_size 13328
		.amdhsa_private_segment_fixed_size 404
		.amdhsa_kernarg_size 104
		.amdhsa_user_sgpr_count 2
		.amdhsa_user_sgpr_dispatch_ptr 0
		.amdhsa_user_sgpr_queue_ptr 0
		.amdhsa_user_sgpr_kernarg_segment_ptr 1
		.amdhsa_user_sgpr_dispatch_id 0
		.amdhsa_user_sgpr_private_segment_size 0
		.amdhsa_wavefront_size32 1
		.amdhsa_uses_dynamic_stack 0
		.amdhsa_enable_private_segment 1
		.amdhsa_system_sgpr_workgroup_id_x 1
		.amdhsa_system_sgpr_workgroup_id_y 0
		.amdhsa_system_sgpr_workgroup_id_z 0
		.amdhsa_system_sgpr_workgroup_info 0
		.amdhsa_system_vgpr_workitem_id 0
		.amdhsa_next_free_vgpr 256
		.amdhsa_next_free_sgpr 54
		.amdhsa_reserve_vcc 1
		.amdhsa_float_round_mode_32 0
		.amdhsa_float_round_mode_16_64 0
		.amdhsa_float_denorm_mode_32 3
		.amdhsa_float_denorm_mode_16_64 3
		.amdhsa_fp16_overflow 0
		.amdhsa_workgroup_processor_mode 1
		.amdhsa_memory_ordered 1
		.amdhsa_forward_progress 0
		.amdhsa_round_robin_scheduling 0
		.amdhsa_exception_fp_ieee_invalid_op 0
		.amdhsa_exception_fp_denorm_src 0
		.amdhsa_exception_fp_ieee_div_zero 0
		.amdhsa_exception_fp_ieee_overflow 0
		.amdhsa_exception_fp_ieee_underflow 0
		.amdhsa_exception_fp_ieee_inexact 0
		.amdhsa_exception_int_div_zero 0
	.end_amdhsa_kernel
	.text
.Lfunc_end0:
	.size	bluestein_single_back_len833_dim1_dp_op_CI_CI, .Lfunc_end0-bluestein_single_back_len833_dim1_dp_op_CI_CI
                                        ; -- End function
	.section	.AMDGPU.csdata,"",@progbits
; Kernel info:
; codeLenInByte = 21344
; NumSgprs: 56
; NumVgprs: 256
; ScratchSize: 404
; MemoryBound: 0
; FloatMode: 240
; IeeeMode: 1
; LDSByteSize: 13328 bytes/workgroup (compile time only)
; SGPRBlocks: 6
; VGPRBlocks: 31
; NumSGPRsForWavesPerEU: 56
; NumVGPRsForWavesPerEU: 256
; Occupancy: 5
; WaveLimiterHint : 1
; COMPUTE_PGM_RSRC2:SCRATCH_EN: 1
; COMPUTE_PGM_RSRC2:USER_SGPR: 2
; COMPUTE_PGM_RSRC2:TRAP_HANDLER: 0
; COMPUTE_PGM_RSRC2:TGID_X_EN: 1
; COMPUTE_PGM_RSRC2:TGID_Y_EN: 0
; COMPUTE_PGM_RSRC2:TGID_Z_EN: 0
; COMPUTE_PGM_RSRC2:TIDIG_COMP_CNT: 0
	.text
	.p2alignl 7, 3214868480
	.fill 96, 4, 3214868480
	.type	__hip_cuid_ae545bb26685e6e1,@object ; @__hip_cuid_ae545bb26685e6e1
	.section	.bss,"aw",@nobits
	.globl	__hip_cuid_ae545bb26685e6e1
__hip_cuid_ae545bb26685e6e1:
	.byte	0                               ; 0x0
	.size	__hip_cuid_ae545bb26685e6e1, 1

	.ident	"AMD clang version 19.0.0git (https://github.com/RadeonOpenCompute/llvm-project roc-6.4.0 25133 c7fe45cf4b819c5991fe208aaa96edf142730f1d)"
	.section	".note.GNU-stack","",@progbits
	.addrsig
	.addrsig_sym __hip_cuid_ae545bb26685e6e1
	.amdgpu_metadata
---
amdhsa.kernels:
  - .args:
      - .actual_access:  read_only
        .address_space:  global
        .offset:         0
        .size:           8
        .value_kind:     global_buffer
      - .actual_access:  read_only
        .address_space:  global
        .offset:         8
        .size:           8
        .value_kind:     global_buffer
      - .actual_access:  read_only
        .address_space:  global
        .offset:         16
        .size:           8
        .value_kind:     global_buffer
      - .actual_access:  read_only
        .address_space:  global
        .offset:         24
        .size:           8
        .value_kind:     global_buffer
      - .actual_access:  read_only
        .address_space:  global
        .offset:         32
        .size:           8
        .value_kind:     global_buffer
      - .offset:         40
        .size:           8
        .value_kind:     by_value
      - .address_space:  global
        .offset:         48
        .size:           8
        .value_kind:     global_buffer
      - .address_space:  global
        .offset:         56
        .size:           8
        .value_kind:     global_buffer
      - .address_space:  global
        .offset:         64
        .size:           8
        .value_kind:     global_buffer
      - .address_space:  global
        .offset:         72
        .size:           8
        .value_kind:     global_buffer
      - .offset:         80
        .size:           4
        .value_kind:     by_value
      - .address_space:  global
        .offset:         88
        .size:           8
        .value_kind:     global_buffer
      - .address_space:  global
        .offset:         96
        .size:           8
        .value_kind:     global_buffer
    .group_segment_fixed_size: 13328
    .kernarg_segment_align: 8
    .kernarg_segment_size: 104
    .language:       OpenCL C
    .language_version:
      - 2
      - 0
    .max_flat_workgroup_size: 119
    .name:           bluestein_single_back_len833_dim1_dp_op_CI_CI
    .private_segment_fixed_size: 404
    .sgpr_count:     56
    .sgpr_spill_count: 0
    .symbol:         bluestein_single_back_len833_dim1_dp_op_CI_CI.kd
    .uniform_work_group_size: 1
    .uses_dynamic_stack: false
    .vgpr_count:     256
    .vgpr_spill_count: 156
    .wavefront_size: 32
    .workgroup_processor_mode: 1
amdhsa.target:   amdgcn-amd-amdhsa--gfx1201
amdhsa.version:
  - 1
  - 2
...

	.end_amdgpu_metadata
